;; amdgpu-corpus repo=ROCm/rocFFT kind=compiled arch=gfx1030 opt=O3
	.text
	.amdgcn_target "amdgcn-amd-amdhsa--gfx1030"
	.amdhsa_code_object_version 6
	.protected	bluestein_single_fwd_len1638_dim1_dp_op_CI_CI ; -- Begin function bluestein_single_fwd_len1638_dim1_dp_op_CI_CI
	.globl	bluestein_single_fwd_len1638_dim1_dp_op_CI_CI
	.p2align	8
	.type	bluestein_single_fwd_len1638_dim1_dp_op_CI_CI,@function
bluestein_single_fwd_len1638_dim1_dp_op_CI_CI: ; @bluestein_single_fwd_len1638_dim1_dp_op_CI_CI
; %bb.0:
	v_mul_u32_u24_e32 v1, 0x169, v0
	s_mov_b64 s[50:51], s[2:3]
	s_mov_b64 s[48:49], s[0:1]
	s_load_dwordx4 s[0:3], s[4:5], 0x28
	s_add_u32 s48, s48, s7
	v_lshrrev_b32_e32 v1, 16, v1
	s_addc_u32 s49, s49, 0
	v_mov_b32_e32 v4, 0
	v_add_nc_u32_e32 v3, s6, v1
	v_mov_b32_e32 v2, v3
	buffer_store_dword v2, off, s[48:51], 0 offset:4 ; 4-byte Folded Spill
	buffer_store_dword v3, off, s[48:51], 0 offset:8 ; 4-byte Folded Spill
	s_waitcnt lgkmcnt(0)
	v_cmp_gt_u64_e32 vcc_lo, s[0:1], v[3:4]
	s_and_saveexec_b32 s0, vcc_lo
	s_cbranch_execz .LBB0_31
; %bb.1:
	s_clause 0x1
	s_load_dwordx2 s[14:15], s[4:5], 0x0
	s_load_dwordx2 s[12:13], s[4:5], 0x38
	v_mul_lo_u16 v1, 0xb6, v1
	v_sub_nc_u16 v0, v0, v1
	v_and_b32_e32 v1, 0xffff, v0
	v_cmp_gt_u16_e32 vcc_lo, 0x7e, v0
	v_lshlrev_b32_e32 v255, 4, v1
	buffer_store_dword v1, off, s[48:51], 0 ; 4-byte Folded Spill
	s_and_saveexec_b32 s1, vcc_lo
	s_cbranch_execz .LBB0_3
; %bb.2:
	s_load_dwordx2 s[6:7], s[4:5], 0x18
	s_waitcnt lgkmcnt(0)
	v_add_co_u32 v90, s0, s14, v255
	v_add_co_ci_u32_e64 v91, null, s15, 0, s0
	v_add_co_u32 v8, s0, 0x800, v90
	v_add_co_ci_u32_e64 v9, s0, 0, v91, s0
	v_add_co_u32 v12, s0, 0x1000, v90
	v_add_co_ci_u32_e64 v13, s0, 0, v91, s0
	;; [unrolled: 2-line block ×3, first 2 shown]
	v_add_co_u32 v20, s0, 0x2000, v90
	s_load_dwordx4 s[8:11], s[6:7], 0x0
	s_clause 0x1
	global_load_dwordx4 v[0:3], v255, s[14:15]
	global_load_dwordx4 v[4:7], v255, s[14:15] offset:2016
	s_clause 0x2
	buffer_load_dword v10, off, s[48:51], 0 offset:4
	buffer_load_dword v11, off, s[48:51], 0 offset:8
	buffer_load_dword v18, off, s[48:51], 0
	v_add_co_ci_u32_e64 v21, s0, 0, v91, s0
	v_add_co_u32 v24, s0, 0x2800, v90
	v_add_co_ci_u32_e64 v25, s0, 0, v91, s0
	v_add_co_u32 v28, s0, 0x3000, v90
	;; [unrolled: 2-line block ×5, first 2 shown]
	v_add_co_ci_u32_e64 v85, s0, 0, v91, s0
	s_waitcnt lgkmcnt(0)
	s_mul_i32 s6, s9, 0x7e0
	s_mul_hi_u32 s7, s8, 0x7e0
	s_add_i32 s7, s7, s6
	s_waitcnt vmcnt(2)
	v_mov_b32_e32 v14, v10
	s_waitcnt vmcnt(0)
	v_mad_u64_u32 v[26:27], null, s8, v18, 0
	v_mad_u64_u32 v[22:23], null, s10, v14, 0
	v_mov_b32_e32 v11, v27
	v_mov_b32_e32 v10, v23
	v_mad_u64_u32 v[30:31], null, s9, v18, v[11:12]
	v_mad_u64_u32 v[14:15], null, s11, v14, v[10:11]
	v_mov_b32_e32 v27, v30
	v_mov_b32_e32 v23, v14
	v_lshlrev_b64 v[26:27], 4, v[26:27]
	s_clause 0x4
	global_load_dwordx4 v[8:11], v[8:9], off offset:1984
	global_load_dwordx4 v[12:15], v[12:13], off offset:1952
	;; [unrolled: 1-line block ×5, first 2 shown]
	v_lshlrev_b64 v[30:31], 4, v[22:23]
	global_load_dwordx4 v[20:23], v[20:21], off offset:1888
	v_add_co_u32 v30, s0, s2, v30
	v_add_co_ci_u32_e64 v31, s0, s3, v31, s0
	s_mul_i32 s2, s8, 0x7e0
	v_add_co_u32 v40, s0, v30, v26
	v_add_co_ci_u32_e64 v41, s0, v31, v27, s0
	global_load_dwordx4 v[24:27], v[24:25], off offset:1856
	v_add_co_u32 v44, s0, v40, s2
	v_add_co_ci_u32_e64 v45, s0, s7, v41, s0
	global_load_dwordx4 v[28:31], v[28:29], off offset:1824
	v_add_co_u32 v48, s0, v44, s2
	v_add_co_ci_u32_e64 v49, s0, s7, v45, s0
	s_clause 0x1
	global_load_dwordx4 v[40:43], v[40:41], off
	global_load_dwordx4 v[44:47], v[44:45], off
	v_add_co_u32 v52, s0, v48, s2
	v_add_co_ci_u32_e64 v53, s0, s7, v49, s0
	global_load_dwordx4 v[48:51], v[48:49], off
	v_add_co_u32 v56, s0, v52, s2
	v_add_co_ci_u32_e64 v57, s0, s7, v53, s0
	;; [unrolled: 3-line block ×5, first 2 shown]
	v_add_co_u32 v72, s0, v68, s2
	v_add_co_ci_u32_e64 v73, s0, s7, v69, s0
	v_add_co_u32 v76, s0, v72, s2
	v_add_co_ci_u32_e64 v77, s0, s7, v73, s0
	;; [unrolled: 2-line block ×3, first 2 shown]
	global_load_dwordx4 v[64:67], v[64:65], off
	global_load_dwordx4 v[68:71], v[68:69], off
	;; [unrolled: 1-line block ×5, first 2 shown]
	v_add_co_u32 v88, s0, v86, s2
	v_add_co_ci_u32_e64 v89, s0, s7, v87, s0
	v_add_co_u32 v92, s0, 0x5000, v90
	v_add_co_ci_u32_e64 v93, s0, 0, v91, s0
	;; [unrolled: 2-line block ×4, first 2 shown]
	global_load_dwordx4 v[84:87], v[84:85], off offset:1728
	global_load_dwordx4 v[88:91], v[88:89], off
	s_clause 0x1
	global_load_dwordx4 v[92:95], v[92:93], off offset:1696
	global_load_dwordx4 v[96:99], v[96:97], off offset:1664
	global_load_dwordx4 v[100:103], v[100:101], off
	s_waitcnt vmcnt(15)
	v_mul_f64 v[104:105], v[42:43], v[2:3]
	v_mul_f64 v[2:3], v[40:41], v[2:3]
	s_waitcnt vmcnt(14)
	v_mul_f64 v[106:107], v[46:47], v[6:7]
	v_mul_f64 v[6:7], v[44:45], v[6:7]
	;; [unrolled: 3-line block ×5, first 2 shown]
	v_fma_f64 v[40:41], v[40:41], v[0:1], v[104:105]
	s_waitcnt vmcnt(10)
	v_mul_f64 v[104:105], v[62:63], v[22:23]
	v_mul_f64 v[22:23], v[60:61], v[22:23]
	v_fma_f64 v[42:43], v[42:43], v[0:1], -v[2:3]
	v_fma_f64 v[0:1], v[44:45], v[4:5], v[106:107]
	v_fma_f64 v[2:3], v[46:47], v[4:5], -v[6:7]
	v_fma_f64 v[4:5], v[48:49], v[8:9], v[108:109]
	;; [unrolled: 2-line block ×3, first 2 shown]
	v_fma_f64 v[10:11], v[54:55], v[12:13], -v[14:15]
	s_waitcnt vmcnt(9)
	v_mul_f64 v[44:45], v[66:67], v[26:27]
	v_mul_f64 v[26:27], v[64:65], v[26:27]
	s_waitcnt vmcnt(8)
	v_mul_f64 v[46:47], v[70:71], v[30:31]
	v_mul_f64 v[30:31], v[68:69], v[30:31]
	;; [unrolled: 3-line block ×4, first 2 shown]
	v_fma_f64 v[12:13], v[56:57], v[16:17], v[112:113]
	v_fma_f64 v[14:15], v[58:59], v[16:17], -v[18:19]
	v_fma_f64 v[16:17], v[60:61], v[20:21], v[104:105]
	v_fma_f64 v[18:19], v[62:63], v[20:21], -v[22:23]
	s_waitcnt vmcnt(4)
	v_mul_f64 v[116:117], v[82:83], v[86:87]
	v_mul_f64 v[86:87], v[80:81], v[86:87]
	s_waitcnt vmcnt(2)
	v_mul_f64 v[118:119], v[90:91], v[94:95]
	v_mul_f64 v[94:95], v[88:89], v[94:95]
	;; [unrolled: 3-line block ×3, first 2 shown]
	v_fma_f64 v[20:21], v[64:65], v[24:25], v[44:45]
	v_fma_f64 v[22:23], v[66:67], v[24:25], -v[26:27]
	v_fma_f64 v[24:25], v[68:69], v[28:29], v[46:47]
	v_fma_f64 v[26:27], v[70:71], v[28:29], -v[30:31]
	;; [unrolled: 2-line block ×7, first 2 shown]
	ds_write_b128 v255, v[40:43]
	ds_write_b128 v255, v[0:3] offset:2016
	ds_write_b128 v255, v[4:7] offset:4032
	;; [unrolled: 1-line block ×12, first 2 shown]
.LBB0_3:
	s_or_b32 exec_lo, exec_lo, s1
	s_waitcnt lgkmcnt(0)
	s_waitcnt_vscnt null, 0x0
	s_barrier
	buffer_gl0_inv
                                        ; implicit-def: $vgpr8_vgpr9
                                        ; implicit-def: $vgpr28_vgpr29
                                        ; implicit-def: $vgpr32_vgpr33
                                        ; implicit-def: $vgpr36_vgpr37
                                        ; implicit-def: $vgpr44_vgpr45
                                        ; implicit-def: $vgpr48_vgpr49
                                        ; implicit-def: $vgpr40_vgpr41
                                        ; implicit-def: $vgpr24_vgpr25
                                        ; implicit-def: $vgpr20_vgpr21
                                        ; implicit-def: $vgpr16_vgpr17
                                        ; implicit-def: $vgpr12_vgpr13
                                        ; implicit-def: $vgpr4_vgpr5
                                        ; implicit-def: $vgpr0_vgpr1
	s_and_saveexec_b32 s0, vcc_lo
	s_cbranch_execz .LBB0_5
; %bb.4:
	ds_read_b128 v[8:11], v255
	ds_read_b128 v[28:31], v255 offset:2016
	ds_read_b128 v[32:35], v255 offset:4032
	;; [unrolled: 1-line block ×12, first 2 shown]
.LBB0_5:
	s_or_b32 exec_lo, exec_lo, s0
	s_waitcnt lgkmcnt(0)
	v_add_f64 v[66:67], v[30:31], -v[2:3]
	s_mov_b32 s6, 0x4267c47c
	s_mov_b32 s7, 0xbfddbe06
	v_add_f64 v[64:65], v[28:29], -v[0:1]
	v_add_f64 v[60:61], v[28:29], v[0:1]
	v_add_f64 v[62:63], v[30:31], v[2:3]
	v_add_f64 v[78:79], v[34:35], -v[6:7]
	v_add_f64 v[76:77], v[32:33], -v[4:5]
	s_mov_b32 s0, 0xe00740e9
	s_mov_b32 s16, 0x42a4c3d2
	;; [unrolled: 1-line block ×6, first 2 shown]
	v_add_f64 v[68:69], v[32:33], v[4:5]
	v_add_f64 v[70:71], v[34:35], v[6:7]
	v_add_f64 v[88:89], v[38:39], -v[14:15]
	v_add_f64 v[106:107], v[36:37], -v[12:13]
	s_mov_b32 s10, 0x1ea71119
	s_mov_b32 s20, 0xebaa3ed8
	;; [unrolled: 1-line block ×4, first 2 shown]
	v_mul_f64 v[52:53], v[66:67], s[6:7]
	v_mul_f64 v[160:161], v[66:67], s[16:17]
	;; [unrolled: 1-line block ×8, first 2 shown]
	s_mov_b32 s11, 0x3fe22d96
	s_mov_b32 s21, 0x3fbedb7d
	s_mov_b32 s25, 0xbfedeba7
	s_mov_b32 s41, 0xbfcea1e5
	v_add_f64 v[72:73], v[36:37], v[12:13]
	v_add_f64 v[74:75], v[38:39], v[14:15]
	v_add_f64 v[114:115], v[44:45], -v[16:17]
	v_add_f64 v[112:113], v[46:47], -v[18:19]
	v_mul_f64 v[136:137], v[88:89], s[18:19]
	v_mul_f64 v[140:141], v[106:107], s[18:19]
	;; [unrolled: 1-line block ×6, first 2 shown]
	buffer_store_dword v52, off, s[48:51], 0 offset:12 ; 4-byte Folded Spill
	buffer_store_dword v53, off, s[48:51], 0 offset:16 ; 4-byte Folded Spill
	v_fma_f64 v[92:93], v[60:61], s[10:11], v[160:161]
	v_fma_f64 v[96:97], v[60:61], s[20:21], v[172:173]
	v_fma_f64 v[54:55], v[62:63], s[0:1], -v[86:87]
	v_fma_f64 v[94:95], v[62:63], s[10:11], -v[166:167]
	;; [unrolled: 1-line block ×3, first 2 shown]
	v_fma_f64 v[56:57], v[68:69], s[10:11], v[90:91]
	v_fma_f64 v[58:59], v[70:71], s[10:11], -v[104:105]
	s_mov_b32 s22, 0xb2365da1
	s_mov_b32 s28, 0x93053d00
	;; [unrolled: 1-line block ×6, first 2 shown]
	v_add_f64 v[82:83], v[44:45], v[16:17]
	v_add_f64 v[84:85], v[46:47], v[18:19]
	v_add_f64 v[116:117], v[50:51], -v[22:23]
	v_mul_f64 v[134:135], v[112:113], s[24:25]
	v_mul_f64 v[138:139], v[114:115], s[24:25]
	;; [unrolled: 1-line block ×4, first 2 shown]
	v_fma_f64 v[100:101], v[72:73], s[20:21], v[136:137]
	v_fma_f64 v[102:103], v[74:75], s[20:21], -v[140:141]
	v_fma_f64 v[168:169], v[68:69], s[22:23], v[144:145]
	v_mul_f64 v[158:159], v[88:89], s[36:37]
	v_add_f64 v[54:55], v[10:11], v[54:55]
	v_mul_f64 v[164:165], v[106:107], s[36:37]
	v_fma_f64 v[176:177], v[70:71], s[28:29], -v[162:163]
	v_add_f64 v[96:97], v[8:9], v[96:97]
	v_add_f64 v[98:99], v[10:11], v[98:99]
	v_mul_f64 v[219:220], v[66:67], s[24:25]
	v_mul_f64 v[229:230], v[64:65], s[24:25]
	s_mov_b32 s30, 0x24c2f84
	s_mov_b32 s31, 0xbfe5384d
	;; [unrolled: 1-line block ×6, first 2 shown]
	v_add_f64 v[118:119], v[48:49], -v[20:21]
	v_add_f64 v[108:109], v[48:49], v[20:21]
	v_mul_f64 v[130:131], v[116:117], s[30:31]
	v_mul_f64 v[146:147], v[112:113], s[38:39]
	;; [unrolled: 1-line block ×3, first 2 shown]
	v_fma_f64 v[180:181], v[82:83], s[22:23], v[134:135]
	v_fma_f64 v[182:183], v[84:85], s[22:23], -v[138:139]
	v_fma_f64 v[186:187], v[72:73], s[28:29], v[150:151]
	v_mul_f64 v[237:238], v[66:67], s[30:31]
	v_add_f64 v[54:55], v[58:59], v[54:55]
	v_add_f64 v[58:59], v[8:9], v[92:93]
	;; [unrolled: 1-line block ×3, first 2 shown]
	v_fma_f64 v[94:95], v[68:69], s[28:29], v[156:157]
	v_mul_f64 v[239:240], v[64:65], s[30:31]
	v_mul_f64 v[174:175], v[112:113], s[42:43]
	;; [unrolled: 1-line block ×4, first 2 shown]
	v_fma_f64 v[197:198], v[60:61], s[22:23], v[219:220]
	v_fma_f64 v[201:202], v[62:63], s[22:23], -v[229:230]
	s_mov_b32 s26, 0xd0032e0c
	s_mov_b32 s27, 0xbfe7f3cc
	;; [unrolled: 1-line block ×4, first 2 shown]
	v_add_f64 v[110:111], v[50:51], v[22:23]
	v_add_f64 v[128:129], v[42:43], -v[26:27]
	v_add_f64 v[142:143], v[40:41], -v[24:25]
	v_mul_f64 v[132:133], v[118:119], s[30:31]
	v_mul_f64 v[170:171], v[118:119], s[34:35]
	v_fma_f64 v[190:191], v[82:83], s[26:27], v[146:147]
	v_mul_f64 v[207:208], v[78:79], s[34:35]
	v_mul_f64 v[195:196], v[88:89], s[42:43]
	v_add_f64 v[54:55], v[102:103], v[54:55]
	v_add_f64 v[58:59], v[168:169], v[58:59]
	v_fma_f64 v[102:103], v[74:75], s[22:23], -v[164:165]
	v_add_f64 v[94:95], v[94:95], v[96:97]
	v_add_f64 v[96:97], v[176:177], v[98:99]
	v_mul_f64 v[168:169], v[116:117], s[34:35]
	v_fma_f64 v[98:99], v[108:109], s[26:27], v[130:131]
	v_mul_f64 v[176:177], v[116:117], s[16:17]
	v_fma_f64 v[203:204], v[82:83], s[0:1], v[174:175]
	v_fma_f64 v[211:212], v[70:71], s[26:27], -v[199:200]
	v_add_f64 v[197:198], v[8:9], v[197:198]
	v_add_f64 v[201:202], v[10:11], v[201:202]
	v_mul_f64 v[227:228], v[106:107], s[42:43]
	v_add_f64 v[120:121], v[40:41], v[24:25]
	v_add_f64 v[122:123], v[42:43], v[26:27]
	v_mul_f64 v[124:125], v[128:129], s[40:41]
	v_mul_f64 v[126:127], v[142:143], s[40:41]
	v_fma_f64 v[188:189], v[110:111], s[26:27], -v[132:133]
	v_mul_f64 v[233:234], v[88:89], s[16:17]
	v_fma_f64 v[223:224], v[110:111], s[20:21], -v[170:171]
	s_mov_b32 s47, 0x3fcea1e5
	v_fma_f64 v[225:226], v[72:73], s[0:1], v[195:196]
	v_add_f64 v[54:55], v[182:183], v[54:55]
	v_fma_f64 v[182:183], v[84:85], s[26:27], -v[148:149]
	v_add_f64 v[58:59], v[186:187], v[58:59]
	v_fma_f64 v[186:187], v[62:63], s[26:27], -v[239:240]
	s_mov_b32 s46, s40
	v_fma_f64 v[217:218], v[108:109], s[20:21], v[168:169]
	s_mov_b32 s45, 0x3fea55e2
	s_mov_b32 s44, s16
	s_clause 0x1
	s_load_dwordx2 s[2:3], s[4:5], 0x20
	s_load_dwordx2 s[8:9], s[4:5], 0x8
	v_mul_f64 v[178:179], v[114:115], s[42:43]
	v_mul_f64 v[231:232], v[76:77], s[34:35]
	v_add_f64 v[211:212], v[211:212], v[201:202]
	v_fma_f64 v[241:242], v[74:75], s[0:1], -v[227:228]
	v_mul_f64 v[201:202], v[114:115], s[18:19]
	v_mul_f64 v[235:236], v[106:107], s[16:17]
	v_fma_f64 v[205:206], v[120:121], s[28:29], v[124:125]
	v_mul_f64 v[221:222], v[114:115], s[46:47]
	v_fma_f64 v[243:244], v[72:73], s[10:11], v[233:234]
	v_add_f64 v[54:55], v[188:189], v[54:55]
	v_mul_f64 v[188:189], v[128:129], s[30:31]
	v_add_f64 v[58:59], v[190:191], v[58:59]
	v_add_f64 v[213:214], v[10:11], v[186:187]
	v_mul_f64 v[186:187], v[142:143], s[42:43]
	v_mul_f64 v[190:191], v[142:143], s[30:31]
	v_fma_f64 v[209:210], v[84:85], s[0:1], -v[178:179]
	v_fma_f64 v[215:216], v[70:71], s[20:21], -v[231:232]
	v_add_f64 v[241:242], v[241:242], v[211:212]
	v_fma_f64 v[80:81], v[84:85], s[20:21], -v[201:202]
	v_fma_f64 v[245:246], v[74:75], s[10:11], -v[235:236]
	v_mul_f64 v[211:212], v[118:119], s[46:47]
	v_add_f64 v[58:59], v[217:218], v[58:59]
	v_mul_f64 v[217:218], v[116:117], s[42:43]
	v_fma_f64 v[249:250], v[122:123], s[0:1], -v[186:187]
	v_fma_f64 v[251:252], v[122:123], s[26:27], -v[190:191]
	v_add_f64 v[215:216], v[215:216], v[213:214]
	v_mul_f64 v[213:214], v[112:113], s[46:47]
	v_fma_f64 v[52:53], v[60:61], s[0:1], v[52:53]
	v_add_f64 v[52:53], v[8:9], v[52:53]
	v_add_f64 v[52:53], v[56:57], v[52:53]
	v_fma_f64 v[56:57], v[70:71], s[22:23], -v[152:153]
	v_add_f64 v[52:53], v[100:101], v[52:53]
	v_fma_f64 v[100:101], v[74:75], s[28:29], -v[154:155]
	v_add_f64 v[56:57], v[56:57], v[92:93]
	v_fma_f64 v[92:93], v[72:73], s[22:23], v[158:159]
	v_add_f64 v[52:53], v[180:181], v[52:53]
	v_mul_f64 v[180:181], v[118:119], s[16:17]
	v_add_f64 v[56:57], v[100:101], v[56:57]
	v_fma_f64 v[100:101], v[60:61], s[26:27], v[237:238]
	v_add_f64 v[92:93], v[92:93], v[94:95]
	v_add_f64 v[94:95], v[102:103], v[96:97]
	v_fma_f64 v[102:103], v[68:69], s[26:27], v[193:194]
	v_fma_f64 v[96:97], v[122:123], s[28:29], -v[126:127]
	v_add_f64 v[52:53], v[98:99], v[52:53]
	v_add_f64 v[56:57], v[182:183], v[56:57]
	;; [unrolled: 1-line block ×3, first 2 shown]
	v_fma_f64 v[100:101], v[68:69], s[20:21], v[207:208]
	v_mul_f64 v[182:183], v[128:129], s[42:43]
	v_add_f64 v[92:93], v[203:204], v[92:93]
	v_fma_f64 v[203:204], v[108:109], s[10:11], v[176:177]
	v_add_f64 v[102:103], v[102:103], v[197:198]
	v_mul_f64 v[197:198], v[112:113], s[18:19]
	v_add_f64 v[94:95], v[209:210], v[94:95]
	v_fma_f64 v[209:210], v[110:111], s[10:11], -v[180:181]
	v_add_f64 v[56:57], v[223:224], v[56:57]
	v_mul_f64 v[223:224], v[118:119], s[42:43]
	v_add_f64 v[98:99], v[100:101], v[98:99]
	v_fma_f64 v[247:248], v[120:121], s[0:1], v[182:183]
	v_add_f64 v[100:101], v[205:206], v[52:53]
	v_add_f64 v[92:93], v[203:204], v[92:93]
	v_add_f64 v[225:226], v[225:226], v[102:103]
	v_fma_f64 v[253:254], v[82:83], s[20:21], v[197:198]
	v_mul_f64 v[203:204], v[116:117], s[46:47]
	v_add_f64 v[102:103], v[96:97], v[54:55]
	v_mul_f64 v[205:206], v[128:129], s[44:45]
	v_add_f64 v[94:95], v[209:210], v[94:95]
	v_fma_f64 v[209:210], v[120:121], s[26:27], v[188:189]
	v_add_f64 v[54:55], v[245:246], v[215:216]
	v_fma_f64 v[215:216], v[82:83], s[28:29], v[213:214]
	v_fma_f64 v[245:246], v[110:111], s[0:1], -v[223:224]
	v_add_f64 v[52:53], v[243:244], v[98:99]
	v_add_f64 v[96:97], v[247:248], v[58:59]
	;; [unrolled: 1-line block ×4, first 2 shown]
	v_fma_f64 v[243:244], v[84:85], s[28:29], -v[221:222]
	v_add_f64 v[56:57], v[253:254], v[225:226]
	v_fma_f64 v[80:81], v[108:109], s[28:29], v[203:204]
	v_fma_f64 v[241:242], v[110:111], s[28:29], -v[211:212]
	v_mul_f64 v[225:226], v[142:143], s[24:25]
	v_add_f64 v[94:95], v[251:252], v[94:95]
	v_add_f64 v[92:93], v[209:210], v[92:93]
	v_mul_f64 v[209:210], v[142:143], s[44:45]
	v_add_f64 v[52:53], v[215:216], v[52:53]
	v_mul_f64 v[215:216], v[128:129], s[24:25]
	v_add_f64 v[54:55], v[243:244], v[54:55]
	v_fma_f64 v[243:244], v[108:109], s[0:1], v[217:218]
	v_add_f64 v[56:57], v[80:81], v[56:57]
	v_fma_f64 v[80:81], v[120:121], s[10:11], v[205:206]
	v_add_f64 v[58:59], v[241:242], v[58:59]
	v_fma_f64 v[241:242], v[122:123], s[10:11], -v[209:210]
	v_add_f64 v[54:55], v[245:246], v[54:55]
	v_add_f64 v[52:53], v[243:244], v[52:53]
	v_fma_f64 v[243:244], v[120:121], s[22:23], v[215:216]
	v_add_f64 v[56:57], v[80:81], v[56:57]
	buffer_load_dword v80, off, s[48:51], 0 ; 4-byte Folded Reload
	v_fma_f64 v[245:246], v[122:123], s[22:23], -v[225:226]
	v_add_f64 v[58:59], v[241:242], v[58:59]
	v_add_f64 v[52:53], v[243:244], v[52:53]
	;; [unrolled: 1-line block ×3, first 2 shown]
	s_waitcnt vmcnt(0)
	v_mul_lo_u16 v80, v80, 13
	buffer_store_dword v80, off, s[48:51], 0 offset:28 ; 4-byte Folded Spill
	s_waitcnt lgkmcnt(0)
	s_waitcnt_vscnt null, 0x0
	s_barrier
	buffer_gl0_inv
	s_and_saveexec_b32 s4, vcc_lo
	s_cbranch_execz .LBB0_7
; %bb.6:
	s_clause 0x1
	buffer_load_dword v249, off, s[48:51], 0 offset:12
	buffer_load_dword v250, off, s[48:51], 0 offset:16
	v_add_f64 v[30:31], v[10:11], v[30:31]
	v_add_f64 v[28:29], v[8:9], v[28:29]
	v_mul_f64 v[243:244], v[60:61], s[22:23]
	v_mul_f64 v[80:81], v[62:63], s[10:11]
	;; [unrolled: 1-line block ×8, first 2 shown]
	v_add_f64 v[30:31], v[30:31], v[34:35]
	v_add_f64 v[28:29], v[28:29], v[32:33]
	v_mul_f64 v[32:33], v[62:63], s[28:29]
	v_mul_f64 v[34:35], v[70:71], s[0:1]
	v_add_f64 v[219:220], v[243:244], -v[219:220]
	v_mul_f64 v[243:244], v[84:85], s[10:11]
	v_add_f64 v[229:230], v[229:230], v[241:242]
	v_add_f64 v[80:81], v[166:167], v[80:81]
	v_mul_f64 v[241:242], v[70:71], s[28:29]
	v_mul_f64 v[166:167], v[74:75], s[20:21]
	v_add_f64 v[30:31], v[30:31], v[38:39]
	v_add_f64 v[28:29], v[28:29], v[36:37]
	v_fma_f64 v[38:39], v[64:65], s[46:47], v[32:33]
	v_fma_f64 v[32:33], v[64:65], s[40:41], v[32:33]
	;; [unrolled: 1-line block ×4, first 2 shown]
	v_add_f64 v[229:230], v[10:11], v[229:230]
	v_add_f64 v[80:81], v[10:11], v[80:81]
	v_mul_f64 v[36:37], v[66:67], s[40:41]
	v_mul_f64 v[64:65], v[60:61], s[10:11]
	;; [unrolled: 1-line block ×4, first 2 shown]
	v_add_f64 v[219:220], v[8:9], v[219:220]
	v_add_f64 v[162:163], v[162:163], v[241:242]
	;; [unrolled: 1-line block ×3, first 2 shown]
	v_fma_f64 v[241:242], v[108:109], s[22:23], v[116:117]
	v_fma_f64 v[116:117], v[108:109], s[22:23], -v[116:117]
	v_add_f64 v[30:31], v[30:31], v[46:47]
	v_add_f64 v[28:29], v[28:29], v[44:45]
	v_mul_f64 v[44:45], v[74:75], s[26:27]
	v_add_f64 v[38:39], v[10:11], v[38:39]
	v_mul_f64 v[46:47], v[60:61], s[0:1]
	v_add_f64 v[32:33], v[10:11], v[32:33]
	v_fma_f64 v[247:248], v[60:61], s[28:29], v[36:37]
	v_fma_f64 v[36:37], v[60:61], s[28:29], -v[36:37]
	v_mul_f64 v[60:61], v[68:69], s[10:11]
	v_add_f64 v[66:67], v[66:67], -v[237:238]
	v_add_f64 v[76:77], v[76:77], -v[172:173]
	;; [unrolled: 1-line block ×3, first 2 shown]
	v_mul_f64 v[237:238], v[68:69], s[28:29]
	v_mul_f64 v[172:173], v[72:73], s[20:21]
	;; [unrolled: 1-line block ×3, first 2 shown]
	v_add_f64 v[30:31], v[30:31], v[50:51]
	v_add_f64 v[28:29], v[28:29], v[48:49]
	v_mul_f64 v[48:49], v[62:63], s[0:1]
	v_mul_f64 v[50:51], v[62:63], s[26:27]
	;; [unrolled: 1-line block ×3, first 2 shown]
	v_add_f64 v[38:39], v[245:246], v[38:39]
	v_add_f64 v[32:33], v[34:35], v[32:33]
	v_mul_f64 v[34:35], v[70:71], s[26:27]
	v_add_f64 v[247:248], v[8:9], v[247:248]
	v_add_f64 v[36:37], v[8:9], v[36:37]
	v_mul_f64 v[245:246], v[68:69], s[26:27]
	v_add_f64 v[66:67], v[8:9], v[66:67]
	v_add_f64 v[76:77], v[8:9], v[76:77]
	;; [unrolled: 1-line block ×3, first 2 shown]
	v_add_f64 v[60:61], v[60:61], -v[90:91]
	v_add_f64 v[156:157], v[237:238], -v[156:157]
	;; [unrolled: 1-line block ×3, first 2 shown]
	v_mul_f64 v[237:238], v[122:123], s[0:1]
	v_mul_f64 v[90:91], v[120:121], s[26:27]
	v_add_f64 v[30:31], v[30:31], v[42:43]
	v_add_f64 v[28:29], v[28:29], v[40:41]
	v_fma_f64 v[42:43], v[106:107], s[38:39], v[44:45]
	v_fma_f64 v[44:45], v[106:107], s[30:31], v[44:45]
	v_add_f64 v[50:51], v[239:240], v[50:51]
	v_add_f64 v[62:63], v[184:185], v[62:63]
	;; [unrolled: 1-line block ×3, first 2 shown]
	v_mul_f64 v[40:41], v[70:71], s[10:11]
	v_mul_f64 v[239:240], v[70:71], s[22:23]
	v_fma_f64 v[184:185], v[68:69], s[0:1], v[78:79]
	v_fma_f64 v[78:79], v[68:69], s[0:1], -v[78:79]
	v_mul_f64 v[70:71], v[70:71], s[20:21]
	v_mul_f64 v[106:107], v[68:69], s[22:23]
	;; [unrolled: 1-line block ×4, first 2 shown]
	v_add_f64 v[34:35], v[199:200], v[34:35]
	v_add_f64 v[192:193], v[245:246], -v[193:194]
	v_mul_f64 v[199:200], v[108:109], s[26:27]
	v_mul_f64 v[245:246], v[120:121], s[10:11]
	v_add_f64 v[26:27], v[30:31], v[26:27]
	v_add_f64 v[24:25], v[28:29], v[24:25]
	;; [unrolled: 1-line block ×4, first 2 shown]
	v_mul_f64 v[44:45], v[122:123], s[20:21]
	v_add_f64 v[50:51], v[10:11], v[50:51]
	v_add_f64 v[62:63], v[10:11], v[62:63]
	;; [unrolled: 1-line block ×3, first 2 shown]
	v_fma_f64 v[42:43], v[72:73], s[26:27], v[88:89]
	v_add_f64 v[184:185], v[184:185], v[247:248]
	v_mul_f64 v[247:248], v[72:73], s[22:23]
	v_add_f64 v[36:37], v[78:79], v[36:37]
	v_mul_f64 v[78:79], v[74:75], s[22:23]
	v_fma_f64 v[88:89], v[72:73], s[26:27], -v[88:89]
	v_add_f64 v[70:71], v[231:232], v[70:71]
	v_add_f64 v[152:153], v[152:153], v[239:240]
	;; [unrolled: 1-line block ×3, first 2 shown]
	v_add_f64 v[106:107], v[106:107], -v[144:145]
	v_add_f64 v[68:69], v[68:69], -v[207:208]
	v_mul_f64 v[231:232], v[82:83], s[22:23]
	v_add_f64 v[34:35], v[34:35], v[229:230]
	v_add_f64 v[86:87], v[154:155], v[86:87]
	v_add_f64 v[22:23], v[26:27], v[22:23]
	v_add_f64 v[20:21], v[24:25], v[20:21]
	v_mul_f64 v[28:29], v[82:83], s[0:1]
	v_add_f64 v[26:27], v[156:157], v[76:77]
	v_fma_f64 v[30:31], v[142:143], s[18:19], v[44:45]
	v_fma_f64 v[44:45], v[142:143], s[34:35], v[44:45]
	v_mul_f64 v[142:143], v[84:85], s[0:1]
	v_add_f64 v[62:63], v[162:163], v[62:63]
	v_mul_f64 v[207:208], v[108:109], s[28:29]
	v_add_f64 v[42:43], v[42:43], v[184:185]
	v_mul_f64 v[184:185], v[84:85], s[22:23]
	v_add_f64 v[158:159], v[247:248], -v[158:159]
	v_add_f64 v[78:79], v[164:165], v[78:79]
	v_add_f64 v[36:37], v[88:89], v[36:37]
	v_fma_f64 v[88:89], v[82:83], s[10:11], v[112:113]
	v_fma_f64 v[112:113], v[82:83], s[10:11], -v[112:113]
	v_add_f64 v[50:51], v[70:71], v[50:51]
	v_add_f64 v[80:81], v[152:153], v[80:81]
	;; [unrolled: 1-line block ×3, first 2 shown]
	v_add_f64 v[40:41], v[172:173], -v[136:137]
	v_add_f64 v[24:25], v[106:107], v[64:65]
	v_add_f64 v[64:65], v[68:69], v[66:67]
	;; [unrolled: 1-line block ×4, first 2 shown]
	v_mul_f64 v[70:71], v[110:111], s[26:27]
	v_add_f64 v[28:29], v[28:29], -v[174:175]
	v_mul_f64 v[229:230], v[120:121], s[28:29]
	v_mul_f64 v[239:240], v[122:123], s[28:29]
	v_add_f64 v[76:77], v[178:179], v[142:143]
	v_mul_f64 v[144:145], v[122:123], s[26:27]
	v_mul_f64 v[104:105], v[120:121], s[0:1]
	v_fma_f64 v[164:165], v[120:121], s[20:21], v[128:129]
	v_fma_f64 v[128:129], v[120:121], s[20:21], -v[128:129]
	v_add_f64 v[22:23], v[158:159], v[26:27]
	v_add_f64 v[62:63], v[78:79], v[62:63]
	v_mul_f64 v[120:121], v[120:121], s[22:23]
	v_add_f64 v[42:43], v[88:89], v[42:43]
	v_add_f64 v[36:37], v[112:113], v[36:37]
	v_mul_f64 v[112:113], v[110:111], s[20:21]
	v_add_f64 v[80:81], v[86:87], v[80:81]
	v_add_f64 v[10:11], v[140:141], v[10:11]
	v_add_f64 v[86:87], v[231:232], -v[134:135]
	v_mul_f64 v[88:89], v[108:109], s[20:21]
	v_add_f64 v[20:21], v[150:151], v[24:25]
	v_add_f64 v[14:15], v[18:19], v[14:15]
	;; [unrolled: 1-line block ×10, first 2 shown]
	s_waitcnt vmcnt(0)
	v_add_f64 v[46:47], v[46:47], -v[249:250]
	v_fma_f64 v[249:250], v[114:115], s[16:17], v[243:244]
	v_fma_f64 v[114:115], v[114:115], s[44:45], v[243:244]
	v_mul_f64 v[243:244], v[110:111], s[22:23]
	v_add_f64 v[8:9], v[8:9], v[46:47]
	v_add_f64 v[38:39], v[249:250], v[38:39]
	v_mul_f64 v[46:47], v[74:75], s[10:11]
	v_fma_f64 v[48:49], v[118:119], s[36:37], v[243:244]
	v_fma_f64 v[118:119], v[118:119], s[24:25], v[243:244]
	v_mul_f64 v[243:244], v[72:73], s[0:1]
	v_mul_f64 v[72:73], v[72:73], s[10:11]
	;; [unrolled: 1-line block ×3, first 2 shown]
	v_add_f64 v[32:33], v[114:115], v[32:33]
	v_mul_f64 v[114:115], v[84:85], s[26:27]
	v_mul_f64 v[249:250], v[82:83], s[26:27]
	v_add_f64 v[8:9], v[60:61], v[8:9]
	v_add_f64 v[60:61], v[192:193], v[219:220]
	;; [unrolled: 1-line block ×4, first 2 shown]
	v_mul_f64 v[235:236], v[82:83], s[20:21]
	v_mul_f64 v[82:83], v[82:83], s[28:29]
	v_add_f64 v[72:73], v[72:73], -v[233:234]
	v_mul_f64 v[233:234], v[84:85], s[20:21]
	v_mul_f64 v[84:85], v[84:85], s[28:29]
	v_add_f64 v[74:75], v[227:228], v[74:75]
	v_add_f64 v[194:195], v[243:244], -v[195:196]
	v_add_f64 v[32:33], v[118:119], v[32:33]
	v_mul_f64 v[118:119], v[110:111], s[10:11]
	v_mul_f64 v[227:228], v[110:111], s[28:29]
	;; [unrolled: 1-line block ×3, first 2 shown]
	v_add_f64 v[78:79], v[148:149], v[114:115]
	v_mul_f64 v[48:49], v[108:109], s[10:11]
	v_mul_f64 v[108:109], v[108:109], s[0:1]
	;; [unrolled: 1-line block ×4, first 2 shown]
	v_add_f64 v[8:9], v[40:41], v[8:9]
	v_add_f64 v[46:47], v[46:47], v[50:51]
	;; [unrolled: 1-line block ×4, first 2 shown]
	buffer_load_dword v1, off, s[48:51], 0 offset:28 ; 4-byte Folded Reload
	v_add_f64 v[50:51], v[82:83], -v[213:214]
	v_add_f64 v[68:69], v[201:202], v[233:234]
	v_add_f64 v[66:67], v[221:222], v[84:85]
	;; [unrolled: 1-line block ×4, first 2 shown]
	v_add_f64 v[82:83], v[249:250], -v[146:147]
	v_add_f64 v[74:75], v[235:236], -v[197:198]
	v_add_f64 v[24:25], v[194:195], v[60:61]
	v_add_f64 v[26:27], v[72:73], v[64:65]
	;; [unrolled: 1-line block ×6, first 2 shown]
	v_add_f64 v[80:81], v[199:200], -v[130:131]
	v_add_f64 v[78:79], v[88:89], -v[168:169]
	;; [unrolled: 1-line block ×3, first 2 shown]
	v_add_f64 v[8:9], v[86:87], v[8:9]
	v_add_f64 v[60:61], v[108:109], -v[217:218]
	v_add_f64 v[28:29], v[209:210], v[243:244]
	v_mov_b32_e32 v0, 4
	v_add_f64 v[46:47], v[66:67], v[46:47]
	v_add_f64 v[34:35], v[68:69], v[34:35]
	;; [unrolled: 1-line block ×5, first 2 shown]
	v_add_f64 v[66:67], v[207:208], -v[203:204]
	v_add_f64 v[20:21], v[74:75], v[24:25]
	v_add_f64 v[22:23], v[50:51], v[26:27]
	;; [unrolled: 1-line block ×3, first 2 shown]
	v_add_f64 v[74:75], v[104:105], -v[182:183]
	v_add_f64 v[72:73], v[72:73], v[76:77]
	v_add_f64 v[76:77], v[126:127], v[239:240]
	v_add_f64 v[50:51], v[190:191], v[144:145]
	v_add_f64 v[18:19], v[48:49], v[18:19]
	v_add_f64 v[80:81], v[80:81], v[8:9]
	v_add_f64 v[8:9], v[44:45], v[32:33]
	v_add_f64 v[32:33], v[6:7], v[2:3]
	v_add_f64 v[6:7], v[128:129], v[36:37]
	v_add_f64 v[2:3], v[164:165], v[42:43]
	v_add_f64 v[26:27], v[40:41], v[46:47]
	v_add_f64 v[34:35], v[64:65], v[34:35]
	v_add_f64 v[10:11], v[70:71], v[10:11]
	v_add_f64 v[70:71], v[229:230], -v[124:125]
	v_add_f64 v[62:63], v[68:69], v[62:63]
	v_add_f64 v[68:69], v[186:187], v[237:238]
	;; [unrolled: 1-line block ×3, first 2 shown]
	v_add_f64 v[64:65], v[90:91], -v[188:189]
	v_add_f64 v[46:47], v[245:246], -v[205:206]
	v_add_f64 v[48:49], v[66:67], v[20:21]
	v_add_f64 v[40:41], v[120:121], -v[215:216]
	v_add_f64 v[60:61], v[60:61], v[22:23]
	v_add_f64 v[12:13], v[24:25], v[26:27]
	;; [unrolled: 1-line block ×11, first 2 shown]
	s_waitcnt vmcnt(0)
	v_lshlrev_b32_sdwa v0, v0, v1 dst_sel:DWORD dst_unused:UNUSED_PAD src0_sel:DWORD src1_sel:WORD_0
	ds_write_b128 v0, v[30:33]
	ds_write_b128 v0, v[26:29] offset:16
	ds_write_b128 v0, v[22:25] offset:32
	;; [unrolled: 1-line block ×12, first 2 shown]
.LBB0_7:
	s_or_b32 exec_lo, exec_lo, s4
	s_waitcnt lgkmcnt(0)
	s_barrier
	buffer_gl0_inv
	ds_read_b128 v[4:7], v255
	ds_read_b128 v[8:11], v255 offset:2912
	ds_read_b128 v[40:43], v255 offset:13104
	;; [unrolled: 1-line block ×7, first 2 shown]
	buffer_load_dword v0, off, s[48:51], 0  ; 4-byte Folded Reload
	s_waitcnt vmcnt(0)
	v_cmp_gt_u16_e64 s0, 0x5b, v0
	s_and_saveexec_b32 s1, s0
	s_cbranch_execz .LBB0_9
; %bb.8:
	ds_read_b128 v[52:55], v255 offset:11648
	ds_read_b128 v[56:59], v255 offset:24752
.LBB0_9:
	s_or_b32 exec_lo, exec_lo, s1
	buffer_load_dword v23, off, s[48:51], 0 ; 4-byte Folded Reload
	v_mov_b32_e32 v1, 0x4ec5
	v_mov_b32_e32 v68, 4
	s_waitcnt vmcnt(0)
	v_and_b32_e32 v0, 0xff, v23
	v_add_co_u32 v150, s1, 0xb6, v23
	v_add_co_ci_u32_e64 v151, null, 0, 0, s1
	v_mul_lo_u16 v0, 0x4f, v0
	v_add_co_u32 v148, s1, 0x16c, v23
	v_add_co_u32 v2, null, 0x222, v23
	v_lshrrev_b16 v0, 10, v0
	v_mul_u32_u24_sdwa v61, v150, v1 dst_sel:DWORD dst_unused:UNUSED_PAD src0_sel:WORD_0 src1_sel:DWORD
	v_mul_u32_u24_sdwa v60, v148, v1 dst_sel:DWORD dst_unused:UNUSED_PAD src0_sel:WORD_0 src1_sel:DWORD
	;; [unrolled: 1-line block ×3, first 2 shown]
	v_add_co_ci_u32_e64 v149, null, 0, 0, s1
	v_mul_lo_u16 v3, v0, 13
	v_lshrrev_b32_e32 v17, 18, v61
	v_lshrrev_b32_e32 v18, 18, v60
	v_lshrrev_b32_e32 v16, 18, v16
	v_sub_nc_u16 v3, v23, v3
	v_mul_lo_u16 v19, v17, 13
	v_mul_lo_u16 v20, v18, 13
	;; [unrolled: 1-line block ×3, first 2 shown]
	v_add_nc_u16 v23, v23, 0x2d8
	v_and_b32_e32 v3, 0xff, v3
	v_sub_nc_u16 v19, v150, v19
	v_sub_nc_u16 v20, v148, v20
	;; [unrolled: 1-line block ×3, first 2 shown]
	v_mul_u32_u24_sdwa v1, v23, v1 dst_sel:DWORD dst_unused:UNUSED_PAD src0_sel:WORD_0 src1_sel:DWORD
	v_lshlrev_b32_e32 v22, 4, v3
	v_lshlrev_b32_sdwa v21, v68, v19 dst_sel:DWORD dst_unused:UNUSED_PAD src0_sel:DWORD src1_sel:WORD_0
	v_lshlrev_b32_sdwa v62, v68, v20 dst_sel:DWORD dst_unused:UNUSED_PAD src0_sel:DWORD src1_sel:WORD_0
	v_mad_u16 v17, v17, 26, v19
	v_lshrrev_b32_e32 v1, 18, v1
	s_clause 0x2
	global_load_dwordx4 v[24:27], v22, s[8:9]
	global_load_dwordx4 v[28:31], v21, s[8:9]
	;; [unrolled: 1-line block ×3, first 2 shown]
	v_lshlrev_b32_sdwa v22, v68, v2 dst_sel:DWORD dst_unused:UNUSED_PAD src0_sel:DWORD src1_sel:WORD_0
	v_mad_u16 v18, v18, 26, v20
	v_mul_lo_u16 v21, v1, 13
	v_mad_u16 v2, v16, 26, v2
	global_load_dwordx4 v[87:90], v22, s[8:9]
	v_sub_nc_u16 v21, v23, v21
	v_lshlrev_b32_sdwa v22, v68, v21 dst_sel:DWORD dst_unused:UNUSED_PAD src0_sel:DWORD src1_sel:WORD_0
	v_mad_u16 v1, v1, 26, v21
	global_load_dwordx4 v[79:82], v22, s[8:9]
	v_mov_b32_e32 v22, 26
	v_mul_u32_u24_sdwa v0, v0, v22 dst_sel:DWORD dst_unused:UNUSED_PAD src0_sel:WORD_0 src1_sel:DWORD
	v_add_lshl_u32 v16, v0, v3, 4
	v_lshlrev_b32_sdwa v3, v68, v17 dst_sel:DWORD dst_unused:UNUSED_PAD src0_sel:DWORD src1_sel:WORD_0
	v_lshlrev_b32_sdwa v0, v68, v2 dst_sel:DWORD dst_unused:UNUSED_PAD src0_sel:DWORD src1_sel:WORD_0
	s_waitcnt vmcnt(3) lgkmcnt(4)
	v_mul_f64 v[66:67], v[38:39], v[30:31]
	v_mul_f64 v[62:63], v[42:43], v[26:27]
	s_waitcnt vmcnt(2) lgkmcnt(1)
	v_mul_f64 v[71:72], v[50:51], v[85:86]
	v_mul_f64 v[64:65], v[40:41], v[26:27]
	;; [unrolled: 1-line block ×4, first 2 shown]
	s_waitcnt vmcnt(1) lgkmcnt(0)
	v_mul_f64 v[75:76], v[46:47], v[89:90]
	v_mul_f64 v[77:78], v[44:45], v[89:90]
	v_fma_f64 v[40:41], v[40:41], v[24:25], -v[62:63]
	v_fma_f64 v[62:63], v[36:37], v[28:29], -v[66:67]
	buffer_store_dword v28, off, s[48:51], 0 offset:116 ; 4-byte Folded Spill
	buffer_store_dword v29, off, s[48:51], 0 offset:120 ; 4-byte Folded Spill
	;; [unrolled: 1-line block ×4, first 2 shown]
	v_fma_f64 v[48:49], v[48:49], v[83:84], -v[71:72]
	buffer_store_dword v83, off, s[48:51], 0 offset:52 ; 4-byte Folded Spill
	buffer_store_dword v84, off, s[48:51], 0 offset:56 ; 4-byte Folded Spill
	;; [unrolled: 1-line block ×4, first 2 shown]
	s_waitcnt vmcnt(0)
	v_mul_f64 v[71:72], v[58:59], v[81:82]
	v_fma_f64 v[66:67], v[44:45], v[87:88], -v[75:76]
	buffer_store_dword v87, off, s[48:51], 0 offset:68 ; 4-byte Folded Spill
	buffer_store_dword v88, off, s[48:51], 0 offset:72 ; 4-byte Folded Spill
	;; [unrolled: 1-line block ×4, first 2 shown]
	v_fma_f64 v[42:43], v[42:43], v[24:25], v[64:65]
	v_add_f64 v[36:37], v[4:5], -v[40:41]
	v_add_f64 v[40:41], v[8:9], -v[62:63]
	;; [unrolled: 1-line block ×4, first 2 shown]
	v_fma_f64 v[4:5], v[4:5], 2.0, -v[36:37]
	v_fma_f64 v[8:9], v[8:9], 2.0, -v[40:41]
	;; [unrolled: 1-line block ×4, first 2 shown]
	v_fma_f64 v[64:65], v[38:39], v[28:29], v[69:70]
	v_add_f64 v[38:39], v[6:7], -v[42:43]
	v_fma_f64 v[50:51], v[50:51], v[83:84], v[73:74]
	v_mul_f64 v[73:74], v[56:57], v[81:82]
	v_fma_f64 v[56:57], v[56:57], v[79:80], -v[71:72]
	buffer_store_dword v79, off, s[48:51], 0 offset:36 ; 4-byte Folded Spill
	buffer_store_dword v80, off, s[48:51], 0 offset:40 ; 4-byte Folded Spill
	;; [unrolled: 1-line block ×4, first 2 shown]
	v_fma_f64 v[69:70], v[46:47], v[87:88], v[77:78]
	s_load_dwordx4 s[4:7], s[2:3], 0x0
	buffer_store_dword v1, off, s[48:51], 0 offset:84 ; 4-byte Folded Spill
	v_lshlrev_b32_sdwa v1, v68, v18 dst_sel:DWORD dst_unused:UNUSED_PAD src0_sel:DWORD src1_sel:WORD_0
	s_waitcnt lgkmcnt(0)
	s_waitcnt_vscnt null, 0x0
	s_barrier
	buffer_gl0_inv
	buffer_store_dword v16, off, s[48:51], 0 offset:100 ; 4-byte Folded Spill
	v_add_f64 v[42:43], v[10:11], -v[64:65]
	v_fma_f64 v[6:7], v[6:7], 2.0, -v[38:39]
	v_add_f64 v[46:47], v[14:15], -v[50:51]
	ds_write_b128 v16, v[36:39] offset:208
	v_add_f64 v[104:105], v[52:53], -v[56:57]
	v_add_f64 v[50:51], v[34:35], -v[69:70]
	v_fma_f64 v[10:11], v[10:11], 2.0, -v[42:43]
	ds_write_b128 v16, v[4:7]
	ds_write_b128 v3, v[8:11]
	v_fma_f64 v[14:15], v[14:15], 2.0, -v[46:47]
	v_fma_f64 v[34:35], v[34:35], 2.0, -v[50:51]
	buffer_store_dword v3, off, s[48:51], 0 offset:96 ; 4-byte Folded Spill
	ds_write_b128 v3, v[40:43] offset:208
	ds_write_b128 v1, v[12:15]
	buffer_store_dword v1, off, s[48:51], 0 offset:92 ; 4-byte Folded Spill
	ds_write_b128 v1, v[44:47] offset:208
	ds_write_b128 v0, v[32:35]
	buffer_store_dword v0, off, s[48:51], 0 offset:88 ; 4-byte Folded Spill
	ds_write_b128 v0, v[48:51] offset:208
	v_fma_f64 v[58:59], v[58:59], v[79:80], v[73:74]
	v_add_f64 v[106:107], v[54:55], -v[58:59]
	s_and_saveexec_b32 s1, s0
	s_cbranch_execz .LBB0_11
; %bb.10:
	buffer_load_dword v0, off, s[48:51], 0 offset:84 ; 4-byte Folded Reload
	v_fma_f64 v[6:7], v[54:55], 2.0, -v[106:107]
	v_fma_f64 v[4:5], v[52:53], 2.0, -v[104:105]
	s_waitcnt vmcnt(0)
	v_lshlrev_b32_sdwa v0, v68, v0 dst_sel:DWORD dst_unused:UNUSED_PAD src0_sel:DWORD src1_sel:WORD_0
	ds_write_b128 v0, v[4:7]
	ds_write_b128 v0, v[104:107] offset:208
.LBB0_11:
	s_or_b32 exec_lo, exec_lo, s1
	buffer_load_dword v19, off, s[48:51], 0 ; 4-byte Folded Reload
	v_lshrrev_b32_e32 v1, 19, v61
	v_lshrrev_b32_e32 v3, 19, v60
	s_waitcnt vmcnt(0) lgkmcnt(0)
	s_waitcnt_vscnt null, 0x0
	s_barrier
	buffer_gl0_inv
	v_mul_lo_u16 v2, v1, 26
	v_mul_lo_u16 v4, v3, 26
	s_mov_b32 s2, 0xe8584caa
	s_mov_b32 s3, 0x3febb67a
	;; [unrolled: 1-line block ×3, first 2 shown]
	v_sub_nc_u16 v2, v150, v2
	v_sub_nc_u16 v16, v148, v4
	s_mov_b32 s10, s2
	v_mov_b32_e32 v18, 0x4e
                                        ; implicit-def: $vgpr144_vgpr145
	v_lshlrev_b16 v6, 5, v2
	v_mad_u16 v1, 0x4e, v1, v2
	v_mad_u16 v2, 0x4e, v3, v16
	v_lshlrev_b32_sdwa v1, v68, v1 dst_sel:DWORD dst_unused:UNUSED_PAD src0_sel:DWORD src1_sel:WORD_0
	v_and_b32_e32 v0, 0xff, v19
	v_mul_lo_u16 v0, 0x4f, v0
	v_lshrrev_b16 v0, 11, v0
	v_mul_lo_u16 v5, v0, 26
	v_mul_u32_u24_sdwa v0, v0, v18 dst_sel:DWORD dst_unused:UNUSED_PAD src0_sel:WORD_0 src1_sel:DWORD
	v_sub_nc_u16 v4, v19, v5
	v_and_b32_e32 v5, 0xffff, v6
	v_lshlrev_b16 v6, 5, v16
	v_and_b32_e32 v17, 0xff, v4
	v_add_co_u32 v4, s1, s8, v5
	v_add_co_ci_u32_e64 v5, null, s9, 0, s1
	v_lshlrev_b32_e32 v7, 5, v17
	v_and_b32_e32 v6, 0xffff, v6
	v_add_lshl_u32 v3, v0, v17, 4
	s_clause 0x3
	global_load_dwordx4 v[20:23], v[4:5], off offset:224
	global_load_dwordx4 v[28:31], v[4:5], off offset:208
	global_load_dwordx4 v[52:55], v7, s[8:9] offset:224
	global_load_dwordx4 v[56:59], v7, s[8:9] offset:208
	v_lshlrev_b32_sdwa v0, v68, v2 dst_sel:DWORD dst_unused:UNUSED_PAD src0_sel:DWORD src1_sel:WORD_0
	v_add_co_u32 v4, s1, s8, v6
	v_add_co_ci_u32_e64 v5, null, s9, 0, s1
	s_clause 0x1
	global_load_dwordx4 v[64:67], v[4:5], off offset:208
	global_load_dwordx4 v[60:63], v[4:5], off offset:224
	ds_read_b128 v[4:7], v255 offset:11648
	ds_read_b128 v[8:11], v255 offset:20384
	;; [unrolled: 1-line block ×7, first 2 shown]
	v_cmp_gt_u16_e64 s1, 52, v19
	s_waitcnt vmcnt(5) lgkmcnt(5)
	v_mul_f64 v[75:76], v[10:11], v[22:23]
	s_waitcnt vmcnt(4)
	v_mul_f64 v[73:74], v[6:7], v[30:31]
	v_mul_f64 v[85:86], v[4:5], v[30:31]
	;; [unrolled: 1-line block ×3, first 2 shown]
	s_waitcnt vmcnt(2) lgkmcnt(4)
	v_mul_f64 v[77:78], v[14:15], v[58:59]
	s_waitcnt lgkmcnt(3)
	v_mul_f64 v[79:80], v[34:35], v[54:55]
	v_mul_f64 v[81:82], v[12:13], v[58:59]
	;; [unrolled: 1-line block ×3, first 2 shown]
	s_waitcnt vmcnt(1) lgkmcnt(2)
	v_mul_f64 v[89:90], v[38:39], v[66:67]
	s_waitcnt vmcnt(0) lgkmcnt(1)
	v_mul_f64 v[108:109], v[42:43], v[62:63]
	v_mul_f64 v[110:111], v[36:37], v[66:67]
	;; [unrolled: 1-line block ×3, first 2 shown]
	v_fma_f64 v[75:76], v[8:9], v[20:21], -v[75:76]
	v_fma_f64 v[73:74], v[4:5], v[28:29], -v[73:74]
	buffer_store_dword v28, off, s[48:51], 0 offset:148 ; 4-byte Folded Spill
	buffer_store_dword v29, off, s[48:51], 0 offset:152 ; 4-byte Folded Spill
	;; [unrolled: 1-line block ×8, first 2 shown]
	v_fma_f64 v[12:13], v[12:13], v[56:57], -v[77:78]
	v_fma_f64 v[32:33], v[32:33], v[52:53], -v[79:80]
	v_fma_f64 v[14:15], v[14:15], v[56:57], v[81:82]
	v_fma_f64 v[34:35], v[34:35], v[52:53], v[83:84]
	v_fma_f64 v[36:37], v[36:37], v[64:65], -v[89:90]
	v_fma_f64 v[40:41], v[40:41], v[60:61], -v[108:109]
	v_fma_f64 v[38:39], v[38:39], v[64:65], v[110:111]
	v_fma_f64 v[42:43], v[42:43], v[60:61], v[112:113]
	v_add_f64 v[81:82], v[73:74], v[75:76]
	v_add_f64 v[83:84], v[12:13], v[32:33]
	v_add_f64 v[124:125], v[12:13], -v[32:33]
	v_add_f64 v[122:123], v[14:15], -v[34:35]
	s_waitcnt lgkmcnt(0)
	v_add_f64 v[114:115], v[69:70], v[36:37]
	v_add_f64 v[89:90], v[36:37], v[40:41]
	;; [unrolled: 1-line block ×4, first 2 shown]
	v_add_f64 v[126:127], v[38:39], -v[42:43]
	v_add_f64 v[128:129], v[36:37], -v[40:41]
	v_fma_f64 v[89:90], v[89:90], -0.5, v[69:70]
	v_fma_f64 v[130:131], v[108:109], -0.5, v[71:72]
	v_fma_f64 v[108:109], v[126:127], s[2:3], v[89:90]
	v_fma_f64 v[77:78], v[6:7], v[28:29], v[85:86]
	;; [unrolled: 1-line block ×3, first 2 shown]
	v_add_f64 v[85:86], v[14:15], v[34:35]
	ds_read_b128 v[4:7], v255 offset:2912
	ds_read_b128 v[8:11], v255
	s_waitcnt lgkmcnt(0)
	s_waitcnt_vscnt null, 0x0
	s_barrier
	buffer_gl0_inv
	v_add_f64 v[110:111], v[4:5], v[73:74]
	v_add_f64 v[87:88], v[77:78], v[79:80]
	v_add_f64 v[112:113], v[77:78], -v[79:80]
	v_add_f64 v[118:119], v[8:9], v[12:13]
	v_add_f64 v[120:121], v[10:11], v[14:15]
	v_fma_f64 v[81:82], v[81:82], -0.5, v[4:5]
	v_fma_f64 v[83:84], v[83:84], -0.5, v[8:9]
	;; [unrolled: 1-line block ×3, first 2 shown]
	v_add_f64 v[73:74], v[73:74], -v[75:76]
	v_add_f64 v[77:78], v[6:7], v[77:78]
	v_add_f64 v[10:11], v[116:117], v[42:43]
	v_fma_f64 v[116:117], v[126:127], s[10:11], v[89:90]
	v_add_f64 v[8:9], v[114:115], v[40:41]
	v_add_f64 v[4:5], v[110:111], v[75:76]
	v_fma_f64 v[87:88], v[87:88], -0.5, v[6:7]
	v_fma_f64 v[110:111], v[128:129], s[10:11], v[130:131]
	v_add_f64 v[12:13], v[118:119], v[32:33]
	v_add_f64 v[14:15], v[120:121], v[34:35]
	v_fma_f64 v[36:37], v[112:113], s[10:11], v[81:82]
	v_fma_f64 v[69:70], v[122:123], s[10:11], v[83:84]
	;; [unrolled: 1-line block ×4, first 2 shown]
	v_add_f64 v[6:7], v[77:78], v[79:80]
	v_fma_f64 v[40:41], v[122:123], s[2:3], v[83:84]
	v_fma_f64 v[42:43], v[124:125], s[10:11], v[85:86]
	;; [unrolled: 1-line block ×3, first 2 shown]
	ds_write_b128 v3, v[12:15]
	ds_write_b128 v3, v[40:43] offset:416
	v_fma_f64 v[38:39], v[73:74], s[2:3], v[87:88]
	v_fma_f64 v[34:35], v[73:74], s[10:11], v[87:88]
	buffer_store_dword v3, off, s[48:51], 0 offset:112 ; 4-byte Folded Spill
	ds_write_b128 v3, v[69:72] offset:832
	ds_write_b128 v1, v[4:7]
	ds_write_b128 v1, v[32:35] offset:416
	buffer_store_dword v1, off, s[48:51], 0 offset:108 ; 4-byte Folded Spill
	ds_write_b128 v1, v[36:39] offset:832
	ds_write_b128 v0, v[8:11]
	ds_write_b128 v0, v[108:111] offset:416
	buffer_store_dword v0, off, s[48:51], 0 offset:104 ; 4-byte Folded Spill
	ds_write_b128 v0, v[116:119] offset:832
	s_waitcnt lgkmcnt(0)
	s_waitcnt_vscnt null, 0x0
	s_barrier
	buffer_gl0_inv
	ds_read_b128 v[112:115], v255
	ds_read_b128 v[136:139], v255 offset:3744
	ds_read_b128 v[128:131], v255 offset:7488
	ds_read_b128 v[124:127], v255 offset:11232
	ds_read_b128 v[120:123], v255 offset:14976
	ds_read_b128 v[132:135], v255 offset:18720
	ds_read_b128 v[140:143], v255 offset:22464
	s_and_saveexec_b32 s2, s1
	s_cbranch_execz .LBB0_13
; %bb.12:
	ds_read_b128 v[108:111], v255 offset:2912
	ds_read_b128 v[116:119], v255 offset:6656
	;; [unrolled: 1-line block ×7, first 2 shown]
.LBB0_13:
	s_or_b32 exec_lo, exec_lo, s2
	buffer_load_dword v3, off, s[48:51], 0  ; 4-byte Folded Reload
	v_lshrrev_b16 v0, 1, v150
	v_mov_b32_e32 v1, 0x6907
	s_mov_b32 s18, 0x37e14327
	s_mov_b32 s26, 0xe976ee23
	;; [unrolled: 1-line block ×4, first 2 shown]
	v_mul_u32_u24_sdwa v0, v0, v1 dst_sel:DWORD dst_unused:UNUSED_PAD src0_sel:WORD_0 src1_sel:DWORD
	s_mov_b32 s27, 0xbfe11646
	s_mov_b32 s11, 0x3febfeb5
	;; [unrolled: 1-line block ×4, first 2 shown]
	v_lshrrev_b32_e32 v0, 20, v0
	s_mov_b32 s28, 0xb247c609
	s_mov_b32 s17, 0xbff2aaaa
	s_mov_b32 s21, 0x3fe77f67
	s_mov_b32 s23, 0xbfe77f67
	v_mul_lo_u16 v0, 0x4e, v0
	s_mov_b32 s29, 0x3fd5d0dc
	s_mov_b32 s31, 0xbfd5d0dc
	;; [unrolled: 1-line block ×4, first 2 shown]
	v_sub_nc_u16 v2, v150, v0
	s_mov_b32 s24, 0x37c3f68c
	s_mov_b32 s25, 0x3fdc38aa
	buffer_store_dword v2, off, s[48:51], 0 offset:32 ; 4-byte Folded Spill
	s_waitcnt vmcnt(0)
	v_lshrrev_b16 v1, 1, v3
	v_and_b32_e32 v1, 0x7f, v1
	v_mul_lo_u16 v1, 0xd3, v1
	v_lshrrev_b16 v0, 13, v1
	v_mul_lo_u16 v1, 0x60, v2
	v_mul_lo_u16 v2, 0x4e, v0
	v_and_b32_e32 v1, 0xffff, v1
	v_sub_nc_u16 v2, v3, v2
	v_add_co_u32 v4, s2, s8, v1
	v_add_co_ci_u32_e64 v5, null, s9, 0, s2
	v_and_b32_e32 v1, 0xff, v2
	s_mov_b32 s2, 0x36b3c0b5
	s_clause 0x1
	global_load_dwordx4 v[176:179], v[4:5], off offset:1040
	global_load_dwordx4 v[20:23], v[4:5], off offset:1056
	s_mov_b32 s3, 0x3fac98ee
	v_mad_u64_u32 v[6:7], null, 0x60, v1, s[8:9]
	v_mov_b32_e32 v2, 0x222
	s_clause 0x9
	global_load_dwordx4 v[16:19], v[4:5], off offset:1072
	global_load_dwordx4 v[184:187], v[4:5], off offset:1120
	;; [unrolled: 1-line block ×10, first 2 shown]
	v_mul_u32_u24_sdwa v0, v0, v2 dst_sel:DWORD dst_unused:UNUSED_PAD src0_sel:WORD_0 src1_sel:DWORD
	v_add_lshl_u32 v192, v0, v1, 4
	s_waitcnt vmcnt(9) lgkmcnt(3)
	v_mul_f64 v[12:13], v[94:95], v[18:19]
	s_waitcnt vmcnt(8) lgkmcnt(0)
	v_mul_f64 v[32:33], v[146:147], v[186:187]
	v_mul_f64 v[4:5], v[118:119], v[178:179]
	;; [unrolled: 1-line block ×3, first 2 shown]
	s_waitcnt vmcnt(7)
	v_mul_f64 v[36:37], v[102:103], v[190:191]
	s_waitcnt vmcnt(6)
	v_mul_f64 v[40:41], v[98:99], v[182:183]
	v_mul_f64 v[6:7], v[116:117], v[178:179]
	;; [unrolled: 1-line block ×7, first 2 shown]
	s_waitcnt vmcnt(5)
	v_mul_f64 v[152:153], v[138:139], v[90:91]
	v_mul_f64 v[154:155], v[136:137], v[90:91]
	s_waitcnt vmcnt(4)
	v_mul_f64 v[156:157], v[130:131], v[78:79]
	v_mul_f64 v[158:159], v[128:129], v[78:79]
	;; [unrolled: 3-line block ×4, first 2 shown]
	v_mul_f64 v[160:161], v[126:127], v[74:75]
	v_mul_f64 v[162:163], v[124:125], v[74:75]
	v_fma_f64 v[12:13], v[92:93], v[16:17], -v[12:13]
	v_fma_f64 v[32:33], v[144:145], v[184:185], -v[32:33]
	;; [unrolled: 1-line block ×3, first 2 shown]
	buffer_store_dword v176, off, s[48:51], 0 offset:196 ; 4-byte Folded Spill
	buffer_store_dword v177, off, s[48:51], 0 offset:200 ; 4-byte Folded Spill
	buffer_store_dword v178, off, s[48:51], 0 offset:204 ; 4-byte Folded Spill
	buffer_store_dword v179, off, s[48:51], 0 offset:208 ; 4-byte Folded Spill
	v_fma_f64 v[8:9], v[104:105], v[20:21], -v[8:9]
	buffer_store_dword v20, off, s[48:51], 0 offset:180 ; 4-byte Folded Spill
	buffer_store_dword v21, off, s[48:51], 0 offset:184 ; 4-byte Folded Spill
	buffer_store_dword v22, off, s[48:51], 0 offset:188 ; 4-byte Folded Spill
	buffer_store_dword v23, off, s[48:51], 0 offset:192 ; 4-byte Folded Spill
	buffer_store_dword v184, off, s[48:51], 0 offset:228 ; 4-byte Folded Spill
	buffer_store_dword v185, off, s[48:51], 0 offset:232 ; 4-byte Folded Spill
	buffer_store_dword v186, off, s[48:51], 0 offset:236 ; 4-byte Folded Spill
	buffer_store_dword v187, off, s[48:51], 0 offset:240 ; 4-byte Folded Spill
	v_fma_f64 v[36:37], v[100:101], v[188:189], -v[36:37]
	buffer_store_dword v188, off, s[48:51], 0 offset:244 ; 4-byte Folded Spill
	buffer_store_dword v189, off, s[48:51], 0 offset:248 ; 4-byte Folded Spill
	buffer_store_dword v190, off, s[48:51], 0 offset:252 ; 4-byte Folded Spill
	buffer_store_dword v191, off, s[48:51], 0 offset:256 ; 4-byte Folded Spill
	;; [unrolled: 9-line block ×3, first 2 shown]
	v_mul_f64 v[168:169], v[122:123], v[70:71]
	v_mul_f64 v[170:171], v[120:121], v[70:71]
	v_fma_f64 v[92:93], v[136:137], v[88:89], -v[152:153]
	v_fma_f64 v[100:101], v[128:129], v[76:77], -v[156:157]
	;; [unrolled: 1-line block ×5, first 2 shown]
	v_add_f64 v[124:125], v[4:5], v[32:33]
	v_add_f64 v[4:5], v[4:5], -v[32:33]
	v_add_f64 v[128:129], v[8:9], v[36:37]
	v_add_f64 v[8:9], v[8:9], -v[36:37]
	;; [unrolled: 2-line block ×3, first 2 shown]
	v_fma_f64 v[120:121], v[120:121], v[68:69], -v[168:169]
	v_fma_f64 v[122:123], v[122:123], v[68:69], v[170:171]
	v_add_f64 v[36:37], v[92:93], v[96:97]
	v_add_f64 v[40:41], v[92:93], -v[96:97]
	v_add_f64 v[92:93], v[100:101], v[104:105]
	v_add_f64 v[96:97], v[100:101], -v[104:105]
	v_add_f64 v[132:133], v[12:13], v[8:9]
	v_add_f64 v[100:101], v[116:117], v[120:121]
	v_add_f64 v[104:105], v[120:121], -v[116:117]
	v_add_f64 v[116:117], v[128:129], v[124:125]
	v_add_f64 v[136:137], v[12:13], -v[8:9]
	v_add_f64 v[140:141], v[4:5], -v[12:13]
	;; [unrolled: 1-line block ×3, first 2 shown]
	v_add_f64 v[12:13], v[92:93], v[36:37]
	v_add_f64 v[124:125], v[124:125], -v[32:33]
	v_add_f64 v[128:129], v[32:33], -v[128:129]
	;; [unrolled: 1-line block ×5, first 2 shown]
	v_add_f64 v[92:93], v[104:105], v[96:97]
	v_add_f64 v[32:33], v[32:33], v[116:117]
	v_add_f64 v[36:37], v[36:37], -v[100:101]
	v_add_f64 v[156:157], v[104:105], -v[96:97]
	;; [unrolled: 1-line block ×3, first 2 shown]
	v_add_f64 v[100:101], v[100:101], v[12:13]
	v_add_f64 v[104:105], v[40:41], -v[104:105]
	v_add_f64 v[116:117], v[132:133], v[4:5]
	v_mul_f64 v[4:5], v[124:125], s[18:19]
	v_mul_f64 v[124:125], v[128:129], s[2:3]
	;; [unrolled: 1-line block ×4, first 2 shown]
	v_add_f64 v[40:41], v[92:93], v[40:41]
	v_add_f64 v[92:93], v[108:109], v[32:33]
	v_mul_f64 v[36:37], v[36:37], s[18:19]
	v_mul_f64 v[156:157], v[156:157], s[26:27]
	;; [unrolled: 1-line block ×3, first 2 shown]
	v_add_f64 v[12:13], v[112:113], v[100:101]
	v_mul_f64 v[108:109], v[152:153], s[2:3]
	v_fma_f64 v[128:129], v[128:129], s[2:3], v[4:5]
	v_fma_f64 v[124:125], v[120:121], s[20:21], -v[124:125]
	v_fma_f64 v[112:113], v[120:121], s[22:23], -v[4:5]
	v_fma_f64 v[4:5], v[140:141], s[28:29], v[132:133]
	v_fma_f64 v[8:9], v[8:9], s[10:11], -v[132:133]
	v_fma_f64 v[32:33], v[32:33], s[16:17], v[92:93]
	v_fma_f64 v[96:97], v[96:97], s[10:11], -v[156:157]
	v_fma_f64 v[100:101], v[100:101], s[16:17], v[12:13]
	v_fma_f64 v[108:109], v[144:145], s[20:21], -v[108:109]
	v_add_f64 v[112:113], v[112:113], v[32:33]
	v_fma_f64 v[6:7], v[118:119], v[176:177], v[6:7]
	v_fma_f64 v[118:119], v[126:127], v[72:73], v[162:163]
	;; [unrolled: 1-line block ×11, first 2 shown]
	v_add_f64 v[126:127], v[6:7], v[34:35]
	v_add_f64 v[6:7], v[6:7], -v[34:35]
	v_add_f64 v[130:131], v[10:11], v[38:39]
	v_add_f64 v[10:11], v[10:11], -v[38:39]
	;; [unrolled: 2-line block ×7, first 2 shown]
	v_add_f64 v[126:127], v[126:127], -v[34:35]
	v_add_f64 v[134:135], v[14:15], v[10:11]
	v_add_f64 v[138:139], v[14:15], -v[10:11]
	v_add_f64 v[142:143], v[6:7], -v[14:15]
	v_add_f64 v[14:15], v[94:95], v[38:39]
	v_add_f64 v[130:131], v[34:35], -v[130:131]
	v_add_f64 v[10:11], v[10:11], -v[6:7]
	;; [unrolled: 1-line block ×4, first 2 shown]
	v_add_f64 v[94:95], v[106:107], v[98:99]
	v_add_f64 v[38:39], v[38:39], -v[102:103]
	v_add_f64 v[158:159], v[106:107], -v[98:99]
	;; [unrolled: 1-line block ×4, first 2 shown]
	v_add_f64 v[34:35], v[34:35], v[118:119]
	v_add_f64 v[118:119], v[134:135], v[6:7]
	v_mul_f64 v[6:7], v[126:127], s[18:19]
	v_mul_f64 v[134:135], v[138:139], s[26:27]
	v_add_f64 v[102:103], v[102:103], v[14:15]
	v_mul_f64 v[126:127], v[130:131], s[2:3]
	v_mul_f64 v[138:139], v[10:11], s[10:11]
	;; [unrolled: 3-line block ×3, first 2 shown]
	v_mul_f64 v[162:163], v[98:99], s[10:11]
	v_add_f64 v[94:95], v[110:111], v[34:35]
	v_mul_f64 v[110:111], v[154:155], s[2:3]
	v_fma_f64 v[130:131], v[130:131], s[2:3], v[6:7]
	v_fma_f64 v[120:121], v[142:143], s[28:29], v[134:135]
	v_add_f64 v[14:15], v[114:115], v[102:103]
	v_fma_f64 v[126:127], v[122:123], s[20:21], -v[126:127]
	v_fma_f64 v[114:115], v[122:123], s[22:23], -v[6:7]
	v_fma_f64 v[10:11], v[10:11], s[10:11], -v[134:135]
	v_fma_f64 v[122:123], v[140:141], s[30:31], -v[136:137]
	v_fma_f64 v[132:133], v[142:143], s[30:31], -v[138:139]
	v_fma_f64 v[134:135], v[104:105], s[28:29], v[156:157]
	v_fma_f64 v[136:137], v[106:107], s[28:29], v[158:159]
	v_fma_f64 v[138:139], v[152:153], s[2:3], v[36:37]
	v_fma_f64 v[140:141], v[154:155], s[2:3], v[38:39]
	v_fma_f64 v[104:105], v[104:105], s[30:31], -v[160:161]
	v_fma_f64 v[106:107], v[106:107], s[30:31], -v[162:163]
	;; [unrolled: 1-line block ×5, first 2 shown]
	v_fma_f64 v[34:35], v[34:35], s[16:17], v[94:95]
	v_fma_f64 v[110:111], v[146:147], s[20:21], -v[110:111]
	v_fma_f64 v[6:7], v[116:117], s[24:25], v[4:5]
	v_fma_f64 v[146:147], v[40:41], s[24:25], v[96:97]
	;; [unrolled: 1-line block ×5, first 2 shown]
	v_add_f64 v[8:9], v[128:129], v[32:33]
	v_fma_f64 v[142:143], v[118:119], s[24:25], v[10:11]
	v_fma_f64 v[116:117], v[116:117], s[24:25], v[122:123]
	;; [unrolled: 1-line block ×3, first 2 shown]
	v_add_f64 v[122:123], v[124:125], v[32:33]
	v_fma_f64 v[144:145], v[40:41], s[24:25], v[134:135]
	v_fma_f64 v[136:137], v[42:43], s[24:25], v[136:137]
	v_add_f64 v[138:139], v[138:139], v[100:101]
	v_fma_f64 v[104:105], v[40:41], s[24:25], v[104:105]
	v_fma_f64 v[106:107], v[42:43], s[24:25], v[106:107]
	v_add_f64 v[152:153], v[36:37], v[100:101]
	v_fma_f64 v[96:97], v[42:43], s[24:25], v[98:99]
	v_add_f64 v[114:115], v[114:115], v[34:35]
	v_add_f64 v[126:127], v[126:127], v[34:35]
	;; [unrolled: 1-line block ×7, first 2 shown]
	v_add_f64 v[16:17], v[8:9], -v[4:5]
	v_add_f64 v[132:133], v[118:119], v[112:113]
	v_add_f64 v[128:129], v[122:123], -v[142:143]
	v_add_f64 v[124:125], v[142:143], v[122:123]
	v_add_f64 v[32:33], v[136:137], v[138:139]
	;; [unrolled: 1-line block ×3, first 2 shown]
	v_add_f64 v[134:135], v[114:115], -v[116:117]
	v_add_f64 v[130:131], v[120:121], v[126:127]
	v_add_f64 v[126:127], v[126:127], -v[120:121]
	v_add_f64 v[120:121], v[112:113], -v[118:119]
	v_add_f64 v[122:123], v[116:117], v[114:115]
	v_add_f64 v[18:19], v[6:7], v[10:11]
	v_add_f64 v[40:41], v[98:99], -v[96:97]
	v_add_f64 v[34:35], v[140:141], -v[144:145]
	;; [unrolled: 1-line block ×3, first 2 shown]
	v_add_f64 v[42:43], v[146:147], v[100:101]
	v_add_f64 v[96:97], v[96:97], v[98:99]
	v_add_f64 v[98:99], v[100:101], -v[146:147]
	v_add_f64 v[100:101], v[152:153], -v[106:107]
	v_add_f64 v[102:103], v[104:105], v[154:155]
	v_add_f64 v[104:105], v[138:139], -v[136:137]
	v_add_f64 v[106:107], v[144:145], v[140:141]
	buffer_store_dword v16, off, s[48:51], 0 offset:12 ; 4-byte Folded Spill
	buffer_store_dword v17, off, s[48:51], 0 offset:16 ; 4-byte Folded Spill
	buffer_store_dword v18, off, s[48:51], 0 offset:20 ; 4-byte Folded Spill
	buffer_store_dword v19, off, s[48:51], 0 offset:24 ; 4-byte Folded Spill
	s_waitcnt_vscnt null, 0x0
	s_barrier
	buffer_gl0_inv
	ds_write_b128 v192, v[12:15]
	ds_write_b128 v192, v[32:35] offset:1248
	ds_write_b128 v192, v[36:39] offset:2496
	;; [unrolled: 1-line block ×6, first 2 shown]
	s_and_saveexec_b32 s2, s1
	s_cbranch_execz .LBB0_15
; %bb.14:
	buffer_load_dword v1, off, s[48:51], 0 offset:32 ; 4-byte Folded Reload
	v_add_f64 v[6:7], v[10:11], -v[6:7]
	v_add_f64 v[4:5], v[4:5], v[8:9]
	v_mov_b32_e32 v0, 4
	s_waitcnt vmcnt(0)
	v_lshlrev_b32_sdwa v0, v0, v1 dst_sel:DWORD dst_unused:UNUSED_PAD src0_sel:DWORD src1_sel:WORD_0
	ds_write_b128 v0, v[92:95] offset:17472
	ds_write_b128 v0, v[132:135] offset:19968
	;; [unrolled: 1-line block ×6, first 2 shown]
	s_clause 0x3
	buffer_load_dword v1, off, s[48:51], 0 offset:12
	buffer_load_dword v2, off, s[48:51], 0 offset:16
	buffer_load_dword v3, off, s[48:51], 0 offset:20
	buffer_load_dword v4, off, s[48:51], 0 offset:24
	s_waitcnt vmcnt(0)
	ds_write_b128 v0, v[1:4] offset:24960
.LBB0_15:
	s_or_b32 exec_lo, exec_lo, s2
	buffer_load_dword v0, off, s[48:51], 0  ; 4-byte Folded Reload
	v_lshlrev_b64 v[8:9], 5, v[150:151]
	s_waitcnt vmcnt(0) lgkmcnt(0)
	s_barrier
	buffer_gl0_inv
	v_lshlrev_b32_e32 v0, 5, v0
	v_add_co_u32 v0, s2, s8, v0
	v_add_co_ci_u32_e64 v1, null, s9, 0, s2
	v_add_co_u32 v4, s2, 0x2000, v0
	v_add_co_ci_u32_e64 v5, s2, 0, v1, s2
	v_add_co_u32 v6, s2, 0x2150, v0
	v_add_co_ci_u32_e64 v7, s2, 0, v1, s2
	v_add_co_u32 v0, s2, s8, v8
	s_clause 0x1
	global_load_dwordx4 v[92:95], v[4:5], off offset:336
	global_load_dwordx4 v[96:99], v[6:7], off offset:16
	v_add_co_ci_u32_e64 v1, s2, s9, v9, s2
	v_lshlrev_b64 v[4:5], 5, v[148:149]
	v_add_co_u32 v6, s2, 0x2150, v0
	v_add_co_ci_u32_e64 v7, s2, 0, v1, s2
	v_add_co_u32 v2, s2, s8, v4
	v_add_co_ci_u32_e64 v3, s2, s9, v5, s2
	;; [unrolled: 2-line block ×5, first 2 shown]
	s_clause 0x3
	global_load_dwordx4 v[100:103], v[4:5], off offset:336
	global_load_dwordx4 v[104:107], v[6:7], off offset:16
	;; [unrolled: 1-line block ×4, first 2 shown]
	ds_read_b128 v[4:7], v255 offset:8736
	ds_read_b128 v[8:11], v255 offset:17472
	;; [unrolled: 1-line block ×7, first 2 shown]
	s_mov_b32 s2, 0xe8584caa
	s_mov_b32 s3, 0x3febb67a
	;; [unrolled: 1-line block ×4, first 2 shown]
	s_waitcnt vmcnt(5) lgkmcnt(6)
	v_mul_f64 v[136:137], v[6:7], v[94:95]
	s_waitcnt vmcnt(4) lgkmcnt(5)
	v_mul_f64 v[138:139], v[10:11], v[98:99]
	v_mul_f64 v[140:141], v[4:5], v[94:95]
	;; [unrolled: 1-line block ×3, first 2 shown]
	v_fma_f64 v[136:137], v[4:5], v[92:93], -v[136:137]
	v_fma_f64 v[138:139], v[8:9], v[96:97], -v[138:139]
	s_waitcnt vmcnt(3) lgkmcnt(4)
	v_mul_f64 v[144:145], v[14:15], v[102:103]
	s_waitcnt vmcnt(2) lgkmcnt(3)
	v_mul_f64 v[146:147], v[34:35], v[106:107]
	v_mul_f64 v[148:149], v[12:13], v[102:103]
	;; [unrolled: 1-line block ×3, first 2 shown]
	s_waitcnt vmcnt(1) lgkmcnt(2)
	v_mul_f64 v[152:153], v[38:39], v[110:111]
	s_waitcnt vmcnt(0) lgkmcnt(1)
	v_mul_f64 v[154:155], v[42:43], v[114:115]
	v_mul_f64 v[156:157], v[36:37], v[110:111]
	;; [unrolled: 1-line block ×3, first 2 shown]
	v_fma_f64 v[140:141], v[6:7], v[92:93], v[140:141]
	v_fma_f64 v[142:143], v[10:11], v[96:97], v[142:143]
	ds_read_b128 v[4:7], v255
	ds_read_b128 v[8:11], v255 offset:2912
	v_fma_f64 v[12:13], v[12:13], v[100:101], -v[144:145]
	v_fma_f64 v[32:33], v[32:33], v[104:105], -v[146:147]
	v_fma_f64 v[14:15], v[14:15], v[100:101], v[148:149]
	v_fma_f64 v[34:35], v[34:35], v[104:105], v[150:151]
	v_fma_f64 v[36:37], v[36:37], v[108:109], -v[152:153]
	v_fma_f64 v[40:41], v[40:41], v[112:113], -v[154:155]
	v_fma_f64 v[38:39], v[38:39], v[108:109], v[156:157]
	v_fma_f64 v[42:43], v[42:43], v[112:113], v[158:159]
	v_add_f64 v[144:145], v[136:137], v[138:139]
	v_add_f64 v[146:147], v[140:141], v[142:143]
	s_waitcnt lgkmcnt(1)
	v_add_f64 v[156:157], v[4:5], v[136:137]
	v_add_f64 v[164:165], v[140:141], -v[142:143]
	v_add_f64 v[140:141], v[6:7], v[140:141]
	s_waitcnt lgkmcnt(0)
	v_add_f64 v[158:159], v[8:9], v[12:13]
	v_add_f64 v[148:149], v[12:13], v[32:33]
	;; [unrolled: 1-line block ×8, first 2 shown]
	v_fma_f64 v[4:5], v[144:145], -0.5, v[4:5]
	v_add_f64 v[144:145], v[136:137], -v[138:139]
	v_fma_f64 v[6:7], v[146:147], -0.5, v[6:7]
	v_add_f64 v[14:15], v[14:15], -v[34:35]
	v_add_f64 v[12:13], v[12:13], -v[32:33]
	;; [unrolled: 1-line block ×4, first 2 shown]
	v_add_f64 v[136:137], v[156:157], v[138:139]
	v_add_f64 v[138:139], v[140:141], v[142:143]
	;; [unrolled: 1-line block ×3, first 2 shown]
	v_fma_f64 v[8:9], v[148:149], -0.5, v[8:9]
	v_add_f64 v[158:159], v[160:161], v[34:35]
	v_fma_f64 v[10:11], v[150:151], -0.5, v[10:11]
	v_add_f64 v[160:161], v[162:163], v[40:41]
	;; [unrolled: 2-line block ×3, first 2 shown]
	v_fma_f64 v[118:119], v[154:155], -0.5, v[118:119]
	v_fma_f64 v[148:149], v[164:165], s[2:3], v[4:5]
	v_fma_f64 v[152:153], v[164:165], s[8:9], v[4:5]
	;; [unrolled: 1-line block ×12, first 2 shown]
	ds_write_b128 v255, v[136:139]
	ds_write_b128 v255, v[156:159] offset:2912
	ds_write_b128 v255, v[160:163] offset:5824
	;; [unrolled: 1-line block ×8, first 2 shown]
	s_waitcnt lgkmcnt(0)
	s_barrier
	buffer_gl0_inv
	s_and_saveexec_b32 s3, vcc_lo
	s_cbranch_execz .LBB0_17
; %bb.16:
	v_add_co_u32 v4, s2, s14, v255
	v_add_co_ci_u32_e64 v5, null, s15, 0, s2
	ds_read_b128 v[201:204], v255
	ds_read_b128 v[205:208], v255 offset:2016
	v_add_co_u32 v6, s2, 0x6000, v4
	v_add_co_ci_u32_e64 v7, s2, 0, v5, s2
	global_load_dwordx4 v[176:179], v[6:7], off offset:1632
	v_add_co_u32 v6, s2, 0x6660, v4
	v_add_co_ci_u32_e64 v7, s2, 0, v5, s2
	global_load_dwordx4 v[172:175], v[6:7], off offset:2016
	v_add_co_u32 v6, s2, 0x7000, v4
	v_add_co_ci_u32_e64 v7, s2, 0, v5, s2
	v_add_co_u32 v10, s2, 0x7800, v4
	v_add_co_ci_u32_e64 v11, s2, 0, v5, s2
	global_load_dwordx4 v[6:9], v[6:7], off offset:1568
	v_add_co_u32 v14, s2, 0x8000, v4
	global_load_dwordx4 v[10:13], v[10:11], off offset:1536
	v_add_co_ci_u32_e64 v15, s2, 0, v5, s2
	global_load_dwordx4 v[32:35], v[14:15], off offset:1504
	v_add_co_u32 v14, s2, 0x8800, v4
	v_add_co_ci_u32_e64 v15, s2, 0, v5, s2
	global_load_dwordx4 v[36:39], v[14:15], off offset:1472
	v_add_co_u32 v14, s2, 0x9000, v4
	;; [unrolled: 3-line block ×7, first 2 shown]
	v_add_co_ci_u32_e64 v15, s2, 0, v5, s2
	v_add_co_u32 v4, s2, 0xc000, v4
	v_add_co_ci_u32_e64 v5, s2, 0, v5, s2
	s_clause 0x1
	global_load_dwordx4 v[193:196], v[14:15], off offset:1280
	global_load_dwordx4 v[197:200], v[4:5], off offset:1248
	s_waitcnt vmcnt(12) lgkmcnt(1)
	v_mul_f64 v[4:5], v[203:204], v[178:179]
	v_mul_f64 v[14:15], v[201:202], v[178:179]
	v_fma_f64 v[201:202], v[201:202], v[176:177], -v[4:5]
	v_fma_f64 v[203:204], v[203:204], v[176:177], v[14:15]
	s_waitcnt vmcnt(11) lgkmcnt(0)
	v_mul_f64 v[4:5], v[207:208], v[174:175]
	v_mul_f64 v[14:15], v[205:206], v[174:175]
	ds_read_b128 v[176:179], v255 offset:4032
	v_fma_f64 v[205:206], v[205:206], v[172:173], -v[4:5]
	v_fma_f64 v[207:208], v[207:208], v[172:173], v[14:15]
	ds_read_b128 v[172:175], v255 offset:6048
	s_waitcnt vmcnt(10) lgkmcnt(1)
	v_mul_f64 v[209:210], v[178:179], v[8:9]
	v_mul_f64 v[8:9], v[176:177], v[8:9]
	v_fma_f64 v[4:5], v[176:177], v[6:7], -v[209:210]
	v_fma_f64 v[6:7], v[178:179], v[6:7], v[8:9]
	s_waitcnt vmcnt(9) lgkmcnt(0)
	v_mul_f64 v[8:9], v[174:175], v[12:13]
	v_mul_f64 v[12:13], v[172:173], v[12:13]
	ds_read_b128 v[176:179], v255 offset:8064
	v_fma_f64 v[8:9], v[172:173], v[10:11], -v[8:9]
	v_fma_f64 v[10:11], v[174:175], v[10:11], v[12:13]
	ds_read_b128 v[12:15], v255 offset:10080
	s_waitcnt vmcnt(8) lgkmcnt(1)
	v_mul_f64 v[209:210], v[178:179], v[34:35]
	v_mul_f64 v[34:35], v[176:177], v[34:35]
	v_fma_f64 v[172:173], v[176:177], v[32:33], -v[209:210]
	s_waitcnt vmcnt(7) lgkmcnt(0)
	v_mul_f64 v[176:177], v[14:15], v[38:39]
	v_mul_f64 v[38:39], v[12:13], v[38:39]
	v_fma_f64 v[174:175], v[178:179], v[32:33], v[34:35]
	ds_read_b128 v[32:35], v255 offset:12096
	v_fma_f64 v[12:13], v[12:13], v[36:37], -v[176:177]
	v_fma_f64 v[14:15], v[14:15], v[36:37], v[38:39]
	ds_read_b128 v[36:39], v255 offset:14112
	s_waitcnt vmcnt(6) lgkmcnt(1)
	v_mul_f64 v[178:179], v[34:35], v[42:43]
	v_mul_f64 v[42:43], v[32:33], v[42:43]
	s_waitcnt vmcnt(5) lgkmcnt(0)
	v_mul_f64 v[176:177], v[38:39], v[118:119]
	v_mul_f64 v[118:119], v[36:37], v[118:119]
	v_fma_f64 v[32:33], v[32:33], v[40:41], -v[178:179]
	v_fma_f64 v[34:35], v[34:35], v[40:41], v[42:43]
	ds_read_b128 v[40:43], v255 offset:16128
	v_fma_f64 v[36:37], v[36:37], v[116:117], -v[176:177]
	v_fma_f64 v[38:39], v[38:39], v[116:117], v[118:119]
	ds_read_b128 v[116:119], v255 offset:18144
	s_waitcnt vmcnt(4) lgkmcnt(1)
	v_mul_f64 v[178:179], v[42:43], v[182:183]
	v_mul_f64 v[176:177], v[40:41], v[182:183]
	s_waitcnt vmcnt(3) lgkmcnt(0)
	v_mul_f64 v[182:183], v[116:117], v[186:187]
	v_fma_f64 v[40:41], v[40:41], v[180:181], -v[178:179]
	v_fma_f64 v[42:43], v[42:43], v[180:181], v[176:177]
	v_mul_f64 v[180:181], v[118:119], v[186:187]
	ds_read_b128 v[176:179], v255 offset:20160
	v_fma_f64 v[118:119], v[118:119], v[184:185], v[182:183]
	v_fma_f64 v[116:117], v[116:117], v[184:185], -v[180:181]
	ds_read_b128 v[180:183], v255 offset:22176
	s_waitcnt vmcnt(2) lgkmcnt(1)
	v_mul_f64 v[186:187], v[178:179], v[190:191]
	v_mul_f64 v[184:185], v[176:177], v[190:191]
	s_waitcnt vmcnt(1) lgkmcnt(0)
	v_mul_f64 v[190:191], v[180:181], v[195:196]
	v_fma_f64 v[176:177], v[176:177], v[188:189], -v[186:187]
	v_fma_f64 v[178:179], v[178:179], v[188:189], v[184:185]
	v_mul_f64 v[188:189], v[182:183], v[195:196]
	ds_read_b128 v[184:187], v255 offset:24192
	v_fma_f64 v[182:183], v[182:183], v[193:194], v[190:191]
	s_waitcnt vmcnt(0) lgkmcnt(0)
	v_mul_f64 v[195:196], v[186:187], v[199:200]
	v_fma_f64 v[180:181], v[180:181], v[193:194], -v[188:189]
	v_mul_f64 v[188:189], v[184:185], v[199:200]
	v_fma_f64 v[184:185], v[184:185], v[197:198], -v[195:196]
	v_fma_f64 v[186:187], v[186:187], v[197:198], v[188:189]
	ds_write_b128 v255, v[201:204]
	ds_write_b128 v255, v[205:208] offset:2016
	ds_write_b128 v255, v[4:7] offset:4032
	ds_write_b128 v255, v[8:11] offset:6048
	ds_write_b128 v255, v[172:175] offset:8064
	ds_write_b128 v255, v[12:15] offset:10080
	ds_write_b128 v255, v[32:35] offset:12096
	ds_write_b128 v255, v[36:39] offset:14112
	ds_write_b128 v255, v[40:43] offset:16128
	ds_write_b128 v255, v[116:119] offset:18144
	ds_write_b128 v255, v[176:179] offset:20160
	ds_write_b128 v255, v[180:183] offset:22176
	ds_write_b128 v255, v[184:187] offset:24192
.LBB0_17:
	s_or_b32 exec_lo, exec_lo, s3
	s_waitcnt lgkmcnt(0)
	s_barrier
	buffer_gl0_inv
	s_and_saveexec_b32 s2, vcc_lo
	s_cbranch_execz .LBB0_19
; %bb.18:
	ds_read_b128 v[136:139], v255
	ds_read_b128 v[148:151], v255 offset:2016
	ds_read_b128 v[152:155], v255 offset:4032
	;; [unrolled: 1-line block ×12, first 2 shown]
.LBB0_19:
	s_or_b32 exec_lo, exec_lo, s2
	s_waitcnt lgkmcnt(0)
	v_add_f64 v[195:196], v[150:151], -v[122:123]
	s_mov_b32 s8, 0x4267c47c
	s_mov_b32 s9, 0xbfddbe06
	v_add_f64 v[219:220], v[158:159], v[130:131]
	s_mov_b32 s18, 0xebaa3ed8
	s_mov_b32 s19, 0x3fbedb7d
	v_add_f64 v[193:194], v[148:149], v[120:121]
	v_add_f64 v[209:210], v[150:151], v[122:123]
	v_add_f64 v[197:198], v[154:155], -v[126:127]
	s_mov_b32 s2, 0xe00740e9
	s_mov_b32 s10, 0x42a4c3d2
	;; [unrolled: 1-line block ×4, first 2 shown]
	v_add_f64 v[199:200], v[152:153], v[124:125]
	v_add_f64 v[205:206], v[148:149], -v[120:121]
	v_add_f64 v[201:202], v[154:155], v[126:127]
	v_add_f64 v[207:208], v[158:159], -v[130:131]
	s_mov_b32 s16, 0x1ea71119
	s_mov_b32 s20, 0x66966769
	;; [unrolled: 1-line block ×4, first 2 shown]
	v_add_f64 v[215:216], v[152:153], -v[124:125]
	v_mul_f64 v[0:1], v[195:196], s[8:9]
	v_add_f64 v[211:212], v[156:157], v[128:129]
	v_add_f64 v[217:218], v[166:167], -v[134:135]
	v_mul_f64 v[14:15], v[219:220], s[18:19]
	s_mov_b32 s22, 0x2ef20147
	s_mov_b32 s23, 0xbfedeba7
	v_add_f64 v[227:228], v[156:157], -v[128:129]
	v_mul_f64 v[16:17], v[209:210], s[2:3]
	v_mul_f64 v[2:3], v[197:198], s[10:11]
	v_add_f64 v[221:222], v[164:165], v[132:133]
	v_add_f64 v[229:230], v[170:171], -v[142:143]
	s_mov_b32 s26, 0xb2365da1
	s_mov_b32 s24, 0x24c2f84
	;; [unrolled: 1-line block ×4, first 2 shown]
	v_mul_f64 v[20:21], v[201:202], s[16:17]
	v_mul_f64 v[18:19], v[207:208], s[20:21]
	v_add_f64 v[233:234], v[168:169], v[140:141]
	s_mov_b32 s28, 0xd0032e0c
	s_mov_b32 s29, 0xbfe7f3cc
	v_add_f64 v[243:244], v[166:167], v[134:135]
	v_add_f64 v[251:252], v[162:163], -v[146:147]
	buffer_store_dword v0, off, s[48:51], 0 offset:452 ; 4-byte Folded Spill
	buffer_store_dword v1, off, s[48:51], 0 offset:456 ; 4-byte Folded Spill
	;; [unrolled: 1-line block ×4, first 2 shown]
	v_mul_f64 v[28:29], v[217:218], s[22:23]
	s_mov_b32 s30, 0x4bc48dbf
	s_mov_b32 s31, 0xbfcea1e5
	v_fma_f64 v[6:7], v[205:206], s[8:9], v[16:17]
	v_fma_f64 v[8:9], v[199:200], s[16:17], -v[2:3]
	v_add_f64 v[245:246], v[160:161], v[144:145]
	v_mul_f64 v[22:23], v[229:230], s[24:25]
	s_mov_b32 s34, 0x93053d00
	s_mov_b32 s35, 0xbfef11f4
	v_add_f64 v[249:250], v[162:163], v[146:147]
	v_add_f64 v[247:248], v[164:165], -v[132:133]
	v_fma_f64 v[10:11], v[215:216], s[10:11], v[20:21]
	v_fma_f64 v[12:13], v[211:212], s[18:19], -v[18:19]
	v_add_f64 v[235:236], v[170:171], v[142:143]
	v_add_f64 v[237:238], v[168:169], -v[140:141]
	v_add_f64 v[223:224], v[160:161], -v[144:145]
	v_mul_f64 v[32:33], v[243:244], s[26:27]
	buffer_store_dword v32, off, s[48:51], 0 offset:284 ; 4-byte Folded Spill
	buffer_store_dword v33, off, s[48:51], 0 offset:288 ; 4-byte Folded Spill
	v_add_f64 v[6:7], v[138:139], v[6:7]
	v_mul_f64 v[30:31], v[235:236], s[28:29]
	s_mov_b32 s41, 0x3fe5384d
	s_mov_b32 s40, s24
	;; [unrolled: 1-line block ×6, first 2 shown]
	v_mul_f64 v[48:49], v[201:202], s[34:35]
	s_mov_b32 s45, 0x3fedeba7
	s_mov_b32 s44, s22
	v_mul_f64 v[44:45], v[217:218], s[38:39]
	v_mul_f64 v[46:47], v[243:244], s[2:3]
	;; [unrolled: 1-line block ×10, first 2 shown]
	s_mov_b32 s46, s30
	v_add_f64 v[6:7], v[10:11], v[6:7]
	v_fma_f64 v[10:11], v[221:222], s[26:27], -v[28:29]
	v_mul_f64 v[50:51], v[235:236], s[34:35]
	s_mov_b32 s43, 0x3fea55e2
	s_mov_b32 s42, s10
	v_mul_f64 v[40:41], v[195:196], s[24:25]
	v_mul_f64 v[42:43], v[209:210], s[28:29]
	;; [unrolled: 1-line block ×4, first 2 shown]
	v_fma_f64 v[4:5], v[193:194], s[2:3], -v[0:1]
	v_add_f64 v[4:5], v[136:137], v[4:5]
	v_add_f64 v[4:5], v[8:9], v[4:5]
	v_fma_f64 v[8:9], v[227:228], s[20:21], v[14:15]
	v_mul_f64 v[14:15], v[197:198], s[36:37]
	v_add_f64 v[4:5], v[12:13], v[4:5]
	v_add_f64 v[6:7], v[8:9], v[6:7]
	v_fma_f64 v[8:9], v[233:234], s[28:29], -v[22:23]
	v_fma_f64 v[12:13], v[247:248], s[22:23], v[32:33]
	v_mul_f64 v[32:33], v[207:208], s[10:11]
	v_add_f64 v[4:5], v[10:11], v[4:5]
	v_fma_f64 v[10:11], v[237:238], s[24:25], v[30:31]
	v_add_f64 v[6:7], v[12:13], v[6:7]
	v_mul_f64 v[12:13], v[209:210], s[18:19]
	v_add_f64 v[4:5], v[8:9], v[4:5]
	v_mul_f64 v[8:9], v[251:252], s[30:31]
	buffer_store_dword v8, off, s[48:51], 0 offset:260 ; 4-byte Folded Spill
	buffer_store_dword v9, off, s[48:51], 0 offset:264 ; 4-byte Folded Spill
	v_add_f64 v[6:7], v[10:11], v[6:7]
	v_mul_f64 v[10:11], v[195:196], s[20:21]
	v_fma_f64 v[8:9], v[245:246], s[34:35], -v[8:9]
	v_add_f64 v[172:173], v[8:9], v[4:5]
	v_mul_f64 v[4:5], v[249:250], s[34:35]
	v_mul_f64 v[8:9], v[201:202], s[26:27]
	buffer_store_dword v4, off, s[48:51], 0 offset:276 ; 4-byte Folded Spill
	buffer_store_dword v5, off, s[48:51], 0 offset:280 ; 4-byte Folded Spill
	v_fma_f64 v[4:5], v[223:224], s[30:31], v[4:5]
	v_add_f64 v[174:175], v[4:5], v[6:7]
	v_mul_f64 v[4:5], v[195:196], s[10:11]
	v_mul_f64 v[6:7], v[197:198], s[22:23]
	buffer_store_dword v4, off, s[48:51], 0 offset:460 ; 4-byte Folded Spill
	buffer_store_dword v5, off, s[48:51], 0 offset:464 ; 4-byte Folded Spill
	;; [unrolled: 1-line block ×6, first 2 shown]
	v_fma_f64 v[4:5], v[193:194], s[16:17], -v[4:5]
	v_fma_f64 v[6:7], v[199:200], s[26:27], -v[6:7]
	v_fma_f64 v[8:9], v[215:216], s[22:23], v[8:9]
	v_add_f64 v[4:5], v[136:137], v[4:5]
	v_add_f64 v[4:5], v[6:7], v[4:5]
	v_mul_f64 v[6:7], v[209:210], s[16:17]
	v_mov_b32_e32 v0, v6
	v_mov_b32_e32 v1, v7
	v_fma_f64 v[6:7], v[205:206], s[10:11], v[6:7]
	v_add_f64 v[6:7], v[138:139], v[6:7]
	v_add_f64 v[6:7], v[8:9], v[6:7]
	v_mul_f64 v[8:9], v[207:208], s[30:31]
	buffer_store_dword v8, off, s[48:51], 0 offset:356 ; 4-byte Folded Spill
	buffer_store_dword v9, off, s[48:51], 0 offset:360 ; 4-byte Folded Spill
	v_fma_f64 v[8:9], v[211:212], s[34:35], -v[8:9]
	v_add_f64 v[4:5], v[8:9], v[4:5]
	v_mul_f64 v[8:9], v[219:220], s[34:35]
	buffer_store_dword v8, off, s[48:51], 0 offset:372 ; 4-byte Folded Spill
	buffer_store_dword v9, off, s[48:51], 0 offset:376 ; 4-byte Folded Spill
	v_fma_f64 v[8:9], v[227:228], s[30:31], v[8:9]
	v_add_f64 v[6:7], v[8:9], v[6:7]
	v_mul_f64 v[8:9], v[217:218], s[40:41]
	buffer_store_dword v8, off, s[48:51], 0 offset:340 ; 4-byte Folded Spill
	buffer_store_dword v9, off, s[48:51], 0 offset:344 ; 4-byte Folded Spill
	v_fma_f64 v[8:9], v[221:222], s[28:29], -v[8:9]
	v_add_f64 v[4:5], v[8:9], v[4:5]
	v_mul_f64 v[8:9], v[243:244], s[28:29]
	buffer_store_dword v8, off, s[48:51], 0 offset:348 ; 4-byte Folded Spill
	buffer_store_dword v9, off, s[48:51], 0 offset:352 ; 4-byte Folded Spill
	v_fma_f64 v[8:9], v[247:248], s[40:41], v[8:9]
	;; [unrolled: 10-line block ×3, first 2 shown]
	v_add_f64 v[6:7], v[8:9], v[6:7]
	v_mul_f64 v[8:9], v[251:252], s[38:39]
	buffer_store_dword v8, off, s[48:51], 0 offset:292 ; 4-byte Folded Spill
	buffer_store_dword v9, off, s[48:51], 0 offset:296 ; 4-byte Folded Spill
	v_fma_f64 v[8:9], v[245:246], s[2:3], -v[8:9]
	v_add_f64 v[176:177], v[8:9], v[4:5]
	v_mul_f64 v[4:5], v[249:250], s[2:3]
	v_fma_f64 v[8:9], v[215:216], s[30:31], v[48:49]
	buffer_store_dword v4, off, s[48:51], 0 offset:300 ; 4-byte Folded Spill
	buffer_store_dword v5, off, s[48:51], 0 offset:304 ; 4-byte Folded Spill
	v_fma_f64 v[4:5], v[223:224], s[38:39], v[4:5]
	v_add_f64 v[178:179], v[4:5], v[6:7]
	v_mul_f64 v[6:7], v[197:198], s[30:31]
	v_fma_f64 v[4:5], v[193:194], s[18:19], -v[10:11]
	buffer_store_dword v6, off, s[48:51], 0 offset:428 ; 4-byte Folded Spill
	buffer_store_dword v7, off, s[48:51], 0 offset:432 ; 4-byte Folded Spill
	v_add_f64 v[4:5], v[136:137], v[4:5]
	v_fma_f64 v[6:7], v[199:200], s[34:35], -v[6:7]
	v_add_f64 v[4:5], v[6:7], v[4:5]
	v_fma_f64 v[6:7], v[205:206], s[20:21], v[12:13]
	v_add_f64 v[6:7], v[138:139], v[6:7]
	v_add_f64 v[6:7], v[8:9], v[6:7]
	v_mul_f64 v[8:9], v[207:208], s[44:45]
	buffer_store_dword v8, off, s[48:51], 0 offset:420 ; 4-byte Folded Spill
	buffer_store_dword v9, off, s[48:51], 0 offset:424 ; 4-byte Folded Spill
	v_fma_f64 v[8:9], v[211:212], s[26:27], -v[8:9]
	v_add_f64 v[4:5], v[8:9], v[4:5]
	v_mul_f64 v[8:9], v[219:220], s[26:27]
	buffer_store_dword v8, off, s[48:51], 0 offset:436 ; 4-byte Folded Spill
	buffer_store_dword v9, off, s[48:51], 0 offset:440 ; 4-byte Folded Spill
	v_fma_f64 v[8:9], v[227:228], s[44:45], v[8:9]
	v_add_f64 v[6:7], v[8:9], v[6:7]
	v_fma_f64 v[8:9], v[221:222], s[2:3], -v[44:45]
	v_add_f64 v[4:5], v[8:9], v[4:5]
	v_fma_f64 v[8:9], v[247:248], s[38:39], v[46:47]
	v_add_f64 v[6:7], v[8:9], v[6:7]
	v_mul_f64 v[8:9], v[229:230], s[10:11]
	buffer_store_dword v8, off, s[48:51], 0 offset:404 ; 4-byte Folded Spill
	buffer_store_dword v9, off, s[48:51], 0 offset:408 ; 4-byte Folded Spill
	v_fma_f64 v[8:9], v[233:234], s[16:17], -v[8:9]
	v_add_f64 v[4:5], v[8:9], v[4:5]
	v_mul_f64 v[8:9], v[235:236], s[16:17]
	buffer_store_dword v8, off, s[48:51], 0 offset:412 ; 4-byte Folded Spill
	buffer_store_dword v9, off, s[48:51], 0 offset:416 ; 4-byte Folded Spill
	v_fma_f64 v[8:9], v[237:238], s[10:11], v[8:9]
	v_add_f64 v[6:7], v[8:9], v[6:7]
	v_mul_f64 v[8:9], v[251:252], s[24:25]
	buffer_store_dword v8, off, s[48:51], 0 offset:316 ; 4-byte Folded Spill
	buffer_store_dword v9, off, s[48:51], 0 offset:320 ; 4-byte Folded Spill
	v_fma_f64 v[8:9], v[245:246], s[28:29], -v[8:9]
	v_add_f64 v[180:181], v[8:9], v[4:5]
	v_mul_f64 v[4:5], v[249:250], s[28:29]
	buffer_store_dword v4, off, s[48:51], 0 offset:324 ; 4-byte Folded Spill
	buffer_store_dword v5, off, s[48:51], 0 offset:328 ; 4-byte Folded Spill
	v_fma_f64 v[8:9], v[215:216], s[40:41], v[239:240]
	v_fma_f64 v[4:5], v[223:224], s[24:25], v[4:5]
	v_add_f64 v[182:183], v[4:5], v[6:7]
	v_fma_f64 v[4:5], v[193:194], s[26:27], -v[38:39]
	v_fma_f64 v[6:7], v[199:200], s[28:29], -v[231:232]
	v_add_f64 v[4:5], v[136:137], v[4:5]
	v_add_f64 v[4:5], v[6:7], v[4:5]
	v_fma_f64 v[6:7], v[205:206], s[22:23], v[253:254]
	v_add_f64 v[6:7], v[138:139], v[6:7]
	v_add_f64 v[6:7], v[8:9], v[6:7]
	v_fma_f64 v[8:9], v[211:212], s[2:3], -v[116:117]
	v_add_f64 v[4:5], v[8:9], v[4:5]
	v_fma_f64 v[8:9], v[227:228], s[38:39], v[241:242]
	v_add_f64 v[6:7], v[8:9], v[6:7]
	v_fma_f64 v[8:9], v[221:222], s[18:19], -v[213:214]
	v_add_f64 v[4:5], v[8:9], v[4:5]
	v_fma_f64 v[8:9], v[247:248], s[20:21], v[225:226]
	v_add_f64 v[6:7], v[8:9], v[6:7]
	v_mul_f64 v[8:9], v[229:230], s[46:47]
	buffer_store_dword v8, off, s[48:51], 0 offset:444 ; 4-byte Folded Spill
	buffer_store_dword v9, off, s[48:51], 0 offset:448 ; 4-byte Folded Spill
	v_fma_f64 v[8:9], v[233:234], s[34:35], -v[8:9]
	v_add_f64 v[4:5], v[8:9], v[4:5]
	v_fma_f64 v[8:9], v[237:238], s[46:47], v[50:51]
	v_add_f64 v[6:7], v[8:9], v[6:7]
	v_mul_f64 v[8:9], v[251:252], s[42:43]
	buffer_store_dword v8, off, s[48:51], 0 offset:364 ; 4-byte Folded Spill
	buffer_store_dword v9, off, s[48:51], 0 offset:368 ; 4-byte Folded Spill
	v_fma_f64 v[8:9], v[245:246], s[16:17], -v[8:9]
	v_add_f64 v[188:189], v[8:9], v[4:5]
	v_mul_f64 v[4:5], v[249:250], s[16:17]
	buffer_store_dword v4, off, s[48:51], 0 offset:388 ; 4-byte Folded Spill
	buffer_store_dword v5, off, s[48:51], 0 offset:392 ; 4-byte Folded Spill
	v_fma_f64 v[8:9], v[215:216], s[36:37], v[34:35]
	v_fma_f64 v[4:5], v[223:224], s[42:43], v[4:5]
	v_add_f64 v[190:191], v[4:5], v[6:7]
	v_fma_f64 v[4:5], v[193:194], s[28:29], -v[40:41]
	v_fma_f64 v[6:7], v[199:200], s[18:19], -v[14:15]
	v_add_f64 v[4:5], v[136:137], v[4:5]
	v_add_f64 v[4:5], v[6:7], v[4:5]
	v_fma_f64 v[6:7], v[205:206], s[24:25], v[42:43]
	v_add_f64 v[6:7], v[138:139], v[6:7]
	v_add_f64 v[6:7], v[8:9], v[6:7]
	v_fma_f64 v[8:9], v[211:212], s[16:17], -v[32:33]
	v_add_f64 v[4:5], v[8:9], v[4:5]
	v_fma_f64 v[8:9], v[227:228], s[10:11], v[36:37]
	v_add_f64 v[118:119], v[8:9], v[6:7]
	v_mul_f64 v[6:7], v[217:218], s[46:47]
	v_fma_f64 v[8:9], v[221:222], s[34:35], -v[6:7]
	v_add_f64 v[4:5], v[8:9], v[4:5]
	v_mul_f64 v[8:9], v[243:244], s[34:35]
	v_fma_f64 v[184:185], v[247:248], s[46:47], v[8:9]
	v_add_f64 v[184:185], v[184:185], v[118:119]
	v_mul_f64 v[118:119], v[229:230], s[38:39]
	buffer_store_dword v118, off, s[48:51], 0 offset:468 ; 4-byte Folded Spill
	buffer_store_dword v119, off, s[48:51], 0 offset:472 ; 4-byte Folded Spill
	v_fma_f64 v[186:187], v[233:234], s[2:3], -v[118:119]
	v_mul_f64 v[118:119], v[249:250], s[26:27]
	v_add_f64 v[186:187], v[186:187], v[4:5]
	v_mul_f64 v[4:5], v[235:236], s[2:3]
	buffer_store_dword v4, off, s[48:51], 0 offset:476 ; 4-byte Folded Spill
	buffer_store_dword v5, off, s[48:51], 0 offset:480 ; 4-byte Folded Spill
	s_waitcnt_vscnt null, 0x0
	s_barrier
	buffer_gl0_inv
	v_fma_f64 v[203:204], v[237:238], s[38:39], v[4:5]
	v_mul_f64 v[4:5], v[251:252], s[22:23]
	v_add_f64 v[203:204], v[203:204], v[184:185]
	v_fma_f64 v[184:185], v[245:246], s[26:27], -v[4:5]
	v_add_f64 v[184:185], v[184:185], v[186:187]
	v_fma_f64 v[186:187], v[223:224], s[22:23], v[118:119]
	v_add_f64 v[186:187], v[186:187], v[203:204]
	s_and_saveexec_b32 s33, vcc_lo
	s_cbranch_execz .LBB0_21
; %bb.20:
	v_add_f64 v[150:151], v[138:139], v[150:151]
	v_add_f64 v[148:149], v[136:137], v[148:149]
	v_mul_f64 v[203:204], v[215:216], s[10:11]
	v_mul_f64 v[197:198], v[197:198], s[38:39]
	;; [unrolled: 1-line block ×4, first 2 shown]
	v_add_f64 v[150:151], v[150:151], v[154:155]
	v_add_f64 v[148:149], v[148:149], v[152:153]
	v_mul_f64 v[152:153], v[195:196], s[30:31]
	v_mul_f64 v[195:196], v[215:216], s[30:31]
	v_add_f64 v[203:204], v[20:21], -v[203:204]
	v_mul_f64 v[20:21], v[233:234], s[34:35]
	v_add_f64 v[150:151], v[150:151], v[158:159]
	v_add_f64 v[148:149], v[148:149], v[156:157]
	v_mul_f64 v[156:157], v[193:194], s[2:3]
	v_fma_f64 v[154:155], v[193:194], s[34:35], -v[152:153]
	v_fma_f64 v[152:153], v[193:194], s[34:35], v[152:153]
	v_add_f64 v[195:196], v[48:49], -v[195:196]
	v_mov_b32_e32 v48, v118
	v_mov_b32_e32 v49, v119
	v_mul_f64 v[118:119], v[247:248], s[40:41]
	v_mul_f64 v[158:159], v[247:248], s[42:43]
	v_add_f64 v[150:151], v[150:151], v[166:167]
	v_add_f64 v[148:149], v[148:149], v[164:165]
	v_mul_f64 v[166:167], v[215:216], s[36:37]
	v_add_f64 v[154:155], v[136:137], v[154:155]
	v_add_f64 v[152:153], v[136:137], v[152:153]
	;; [unrolled: 1-line block ×4, first 2 shown]
	v_mul_f64 v[170:171], v[227:228], s[10:11]
	v_add_f64 v[34:35], v[34:35], -v[166:167]
	v_mul_f64 v[166:167], v[223:224], s[36:37]
	v_add_f64 v[150:151], v[150:151], v[162:163]
	v_add_f64 v[148:149], v[148:149], v[160:161]
	v_add_f64 v[36:37], v[36:37], -v[170:171]
	v_mul_f64 v[170:171], v[211:212], s[16:17]
	v_mul_f64 v[162:163], v[237:238], s[22:23]
	v_fma_f64 v[168:169], v[249:250], s[18:19], v[166:167]
	v_fma_f64 v[166:167], v[249:250], s[18:19], -v[166:167]
	v_mul_f64 v[249:250], v[247:248], s[46:47]
	v_fma_f64 v[160:161], v[243:244], s[16:17], v[158:159]
	v_fma_f64 v[158:159], v[243:244], s[16:17], -v[158:159]
	v_fma_f64 v[243:244], v[211:212], s[28:29], -v[207:208]
	v_fma_f64 v[207:208], v[211:212], s[28:29], v[207:208]
	v_add_f64 v[146:147], v[150:151], v[146:147]
	v_add_f64 v[144:145], v[148:149], v[144:145]
	v_mul_f64 v[148:149], v[193:194], s[16:17]
	v_mul_f64 v[150:151], v[205:206], s[8:9]
	v_add_f64 v[32:33], v[170:171], v[32:33]
	v_mul_f64 v[170:171], v[215:216], s[40:41]
	v_fma_f64 v[164:165], v[235:236], s[26:27], v[162:163]
	v_fma_f64 v[162:163], v[235:236], s[26:27], -v[162:163]
	v_mul_f64 v[235:236], v[211:212], s[26:27]
	v_add_f64 v[8:9], v[8:9], -v[249:250]
	v_mul_f64 v[249:250], v[221:222], s[34:35]
	v_add_f64 v[142:143], v[146:147], v[142:143]
	v_mul_f64 v[146:147], v[193:194], s[26:27]
	v_add_f64 v[140:141], v[144:145], v[140:141]
	v_mul_f64 v[144:145], v[205:206], s[24:25]
	v_add_f64 v[150:151], v[16:17], -v[150:151]
	v_add_f64 v[170:171], v[239:240], -v[170:171]
	v_mul_f64 v[239:240], v[227:228], s[30:31]
	v_add_f64 v[6:7], v[249:250], v[6:7]
	v_mul_f64 v[249:250], v[247:248], s[20:21]
	v_add_f64 v[134:135], v[142:143], v[134:135]
	v_add_f64 v[38:39], v[146:147], v[38:39]
	v_mul_f64 v[146:147], v[205:206], s[20:21]
	v_add_f64 v[132:133], v[140:141], v[132:133]
	v_add_f64 v[42:43], v[42:43], -v[144:145]
	v_mul_f64 v[144:145], v[193:194], s[28:29]
	v_mul_f64 v[140:141], v[205:206], s[30:31]
	v_add_f64 v[225:226], v[225:226], -v[249:250]
	v_mul_f64 v[249:250], v[221:222], s[18:19]
	v_add_f64 v[130:131], v[134:135], v[130:131]
	v_add_f64 v[38:39], v[136:137], v[38:39]
	v_add_f64 v[12:13], v[12:13], -v[146:147]
	v_mul_f64 v[146:147], v[193:194], s[18:19]
	v_add_f64 v[128:129], v[132:133], v[128:129]
	v_mul_f64 v[132:133], v[215:216], s[38:39]
	v_add_f64 v[40:41], v[144:145], v[40:41]
	v_mul_f64 v[144:145], v[205:206], s[22:23]
	v_fma_f64 v[142:143], v[209:210], s[34:35], v[140:141]
	v_fma_f64 v[140:141], v[209:210], s[34:35], -v[140:141]
	v_add_f64 v[42:43], v[138:139], v[42:43]
	v_mul_f64 v[193:194], v[199:200], s[18:19]
	v_mul_f64 v[209:210], v[199:200], s[16:17]
	v_add_f64 v[213:214], v[249:250], v[213:214]
	v_mul_f64 v[249:250], v[247:248], s[38:39]
	v_mul_f64 v[247:248], v[247:248], s[22:23]
	v_add_f64 v[126:127], v[130:131], v[126:127]
	v_add_f64 v[12:13], v[138:139], v[12:13]
	;; [unrolled: 1-line block ×3, first 2 shown]
	v_mul_f64 v[146:147], v[205:206], s[10:11]
	v_fma_f64 v[134:135], v[201:202], s[2:3], v[132:133]
	v_fma_f64 v[132:133], v[201:202], s[2:3], -v[132:133]
	v_mul_f64 v[201:202], v[215:216], s[22:23]
	v_mul_f64 v[205:206], v[199:200], s[34:35]
	;; [unrolled: 1-line block ×3, first 2 shown]
	v_add_f64 v[144:145], v[253:254], -v[144:145]
	v_add_f64 v[142:143], v[138:139], v[142:143]
	v_add_f64 v[140:141], v[138:139], v[140:141]
	;; [unrolled: 1-line block ×4, first 2 shown]
	v_mul_f64 v[193:194], v[227:228], s[38:39]
	v_add_f64 v[249:250], v[46:47], -v[249:250]
	v_mov_b32_e32 v47, v5
	v_mov_b32_e32 v46, v4
	v_mul_f64 v[4:5], v[221:222], s[28:29]
	v_add_f64 v[209:210], v[209:210], v[2:3]
	v_fma_f64 v[2:3], v[221:222], s[16:17], v[217:218]
	v_mul_f64 v[253:254], v[221:222], s[2:3]
	v_add_f64 v[34:35], v[34:35], v[42:43]
	v_add_f64 v[12:13], v[195:196], v[12:13]
	v_add_f64 v[10:11], v[136:137], v[10:11]
	v_add_f64 v[146:147], v[0:1], -v[146:147]
	s_clause 0x1
	buffer_load_dword v0, off, s[48:51], 0 offset:460
	buffer_load_dword v1, off, s[48:51], 0 offset:464
	v_add_f64 v[124:125], v[128:129], v[124:125]
	v_add_f64 v[122:123], v[126:127], v[122:123]
	;; [unrolled: 1-line block ×5, first 2 shown]
	v_mul_f64 v[140:141], v[233:234], s[16:17]
	v_add_f64 v[14:15], v[14:15], v[40:41]
	v_add_f64 v[193:194], v[241:242], -v[193:194]
	v_mul_f64 v[241:242], v[211:212], s[34:35]
	v_add_f64 v[253:254], v[253:254], v[44:45]
	v_mov_b32_e32 v45, v31
	v_mov_b32_e32 v44, v30
	v_add_f64 v[34:35], v[36:37], v[34:35]
	v_add_f64 v[146:147], v[138:139], v[146:147]
	;; [unrolled: 1-line block ×3, first 2 shown]
	v_mul_f64 v[150:151], v[227:228], s[24:25]
	v_add_f64 v[120:121], v[124:125], v[120:121]
	v_add_f64 v[42:43], v[170:171], v[144:145]
	;; [unrolled: 1-line block ×8, first 2 shown]
	s_waitcnt vmcnt(0)
	v_add_f64 v[148:149], v[148:149], v[0:1]
	s_clause 0x1
	buffer_load_dword v0, off, s[48:51], 0 offset:452
	buffer_load_dword v1, off, s[48:51], 0 offset:456
	v_add_f64 v[148:149], v[136:137], v[148:149]
	s_waitcnt vmcnt(0)
	v_add_f64 v[156:157], v[156:157], v[0:1]
	s_clause 0x1
	buffer_load_dword v0, off, s[48:51], 0 offset:396
	buffer_load_dword v1, off, s[48:51], 0 offset:400
	v_add_f64 v[136:137], v[136:137], v[156:157]
	v_fma_f64 v[156:157], v[219:220], s[28:29], v[150:151]
	v_fma_f64 v[150:151], v[219:220], s[28:29], -v[150:151]
	v_fma_f64 v[219:220], v[199:200], s[2:3], -v[197:198]
	v_fma_f64 v[197:198], v[199:200], s[2:3], v[197:198]
	v_mul_f64 v[199:200], v[199:200], s[28:29]
	v_add_f64 v[136:137], v[209:210], v[136:137]
	v_add_f64 v[134:135], v[156:157], v[134:135]
	;; [unrolled: 1-line block ×3, first 2 shown]
	v_mul_f64 v[156:157], v[223:224], s[38:39]
	v_add_f64 v[152:153], v[197:198], v[152:153]
	v_add_f64 v[199:200], v[199:200], v[231:232]
	v_mul_f64 v[231:232], v[211:212], s[2:3]
	v_mul_f64 v[211:212], v[211:212], s[18:19]
	v_add_f64 v[134:135], v[160:161], v[134:135]
	v_add_f64 v[132:133], v[158:159], v[132:133]
	v_mul_f64 v[158:159], v[245:246], s[2:3]
	;; [unrolled: 4-line block ×4, first 2 shown]
	v_add_f64 v[38:39], v[116:117], v[38:39]
	v_add_f64 v[136:137], v[211:212], v[136:137]
	;; [unrolled: 1-line block ×3, first 2 shown]
	s_waitcnt vmcnt(0)
	v_add_f64 v[201:202], v[0:1], -v[201:202]
	s_clause 0x1
	buffer_load_dword v0, off, s[48:51], 0 offset:428
	buffer_load_dword v1, off, s[48:51], 0 offset:432
	v_add_f64 v[144:145], v[201:202], v[146:147]
	v_mul_f64 v[146:147], v[237:238], s[36:37]
	s_waitcnt vmcnt(0)
	v_add_f64 v[205:206], v[205:206], v[0:1]
	s_clause 0x1
	buffer_load_dword v0, off, s[48:51], 0 offset:380
	buffer_load_dword v1, off, s[48:51], 0 offset:384
	v_add_f64 v[10:11], v[205:206], v[10:11]
	s_waitcnt vmcnt(0)
	v_add_f64 v[215:216], v[215:216], v[0:1]
	s_clause 0x1
	buffer_load_dword v0, off, s[48:51], 0 offset:436
	buffer_load_dword v1, off, s[48:51], 0 offset:440
	v_add_f64 v[148:149], v[215:216], v[148:149]
	s_waitcnt vmcnt(0)
	v_add_f64 v[231:232], v[0:1], -v[231:232]
	s_clause 0x1
	buffer_load_dword v0, off, s[48:51], 0 offset:420
	buffer_load_dword v1, off, s[48:51], 0 offset:424
	v_add_f64 v[12:13], v[231:232], v[12:13]
	v_add_f64 v[12:13], v[249:250], v[12:13]
	s_waitcnt vmcnt(0)
	v_add_f64 v[235:236], v[235:236], v[0:1]
	s_clause 0x1
	buffer_load_dword v0, off, s[48:51], 0 offset:372
	buffer_load_dword v1, off, s[48:51], 0 offset:376
	v_add_f64 v[10:11], v[235:236], v[10:11]
	v_add_f64 v[10:11], v[253:254], v[10:11]
	s_waitcnt vmcnt(0)
	v_add_f64 v[239:240], v[0:1], -v[239:240]
	s_clause 0x1
	buffer_load_dword v0, off, s[48:51], 0 offset:356
	buffer_load_dword v1, off, s[48:51], 0 offset:360
	v_add_f64 v[42:43], v[239:240], v[144:145]
	v_mul_f64 v[144:145], v[233:234], s[18:19]
	s_waitcnt vmcnt(0)
	v_add_f64 v[241:242], v[241:242], v[0:1]
	s_clause 0x1
	buffer_load_dword v0, off, s[48:51], 0 offset:268
	buffer_load_dword v1, off, s[48:51], 0 offset:272
	v_add_f64 v[148:149], v[241:242], v[148:149]
	s_waitcnt vmcnt(0)
	v_add_f64 v[227:228], v[0:1], -v[227:228]
	s_clause 0x1
	buffer_load_dword v0, off, s[48:51], 0 offset:348
	buffer_load_dword v1, off, s[48:51], 0 offset:352
	v_add_f64 v[138:139], v[227:228], v[138:139]
	s_waitcnt vmcnt(0)
	v_add_f64 v[118:119], v[0:1], -v[118:119]
	s_clause 0x1
	buffer_load_dword v0, off, s[48:51], 0 offset:340
	buffer_load_dword v1, off, s[48:51], 0 offset:344
	v_add_f64 v[34:35], v[118:119], v[42:43]
	v_mul_f64 v[118:119], v[229:230], s[22:23]
	v_mul_f64 v[42:43], v[237:238], s[24:25]
	v_add_f64 v[42:43], v[44:45], -v[42:43]
	s_waitcnt vmcnt(0)
	v_add_f64 v[4:5], v[4:5], v[0:1]
	s_clause 0x5
	buffer_load_dword v0, off, s[48:51], 0 offset:284
	buffer_load_dword v1, off, s[48:51], 0 offset:288
	buffer_load_dword v16, off, s[48:51], 0 offset:476
	buffer_load_dword v17, off, s[48:51], 0 offset:480
	buffer_load_dword v18, off, s[48:51], 0 offset:468
	buffer_load_dword v19, off, s[48:51], 0 offset:472
	v_add_f64 v[4:5], v[4:5], v[148:149]
	v_mul_f64 v[148:149], v[223:224], s[42:43]
	s_waitcnt vmcnt(4)
	v_add_f64 v[247:248], v[0:1], -v[247:248]
	v_fma_f64 v[0:1], v[221:222], s[16:17], -v[217:218]
	v_mul_f64 v[217:218], v[221:222], s[26:27]
	v_mul_f64 v[221:222], v[237:238], s[38:39]
	v_add_f64 v[116:117], v[247:248], v[138:139]
	v_mul_f64 v[138:139], v[223:224], s[22:23]
	v_add_f64 v[217:218], v[217:218], v[28:29]
	s_clause 0x7
	buffer_load_dword v28, off, s[48:51], 0 offset:444
	buffer_load_dword v29, off, s[48:51], 0 offset:448
	;; [unrolled: 1-line block ×8, first 2 shown]
	s_waitcnt vmcnt(10)
	v_add_f64 v[221:222], v[16:17], -v[221:222]
	v_mul_f64 v[16:17], v[233:234], s[2:3]
	v_add_f64 v[116:117], v[42:43], v[116:117]
	v_add_f64 v[14:15], v[48:49], -v[138:139]
	v_mul_f64 v[138:139], v[245:246], s[16:17]
	v_add_f64 v[136:137], v[217:218], v[136:137]
	v_add_f64 v[8:9], v[221:222], v[8:9]
	s_waitcnt vmcnt(8)
	v_add_f64 v[16:17], v[16:17], v[18:19]
	v_mul_f64 v[18:19], v[237:238], s[46:47]
	v_add_f64 v[14:15], v[14:15], v[8:9]
	v_add_f64 v[16:17], v[16:17], v[6:7]
	v_add_f64 v[18:19], v[50:51], -v[18:19]
	v_add_f64 v[6:7], v[168:169], v[36:37]
	v_add_f64 v[18:19], v[18:19], v[32:33]
	v_mul_f64 v[32:33], v[245:246], s[34:35]
	s_waitcnt vmcnt(6)
	v_add_f64 v[20:21], v[20:21], v[28:29]
	v_mov_b32_e32 v29, v23
	v_mov_b32_e32 v28, v22
	s_waitcnt vmcnt(0)
	v_add_f64 v[146:147], v[150:151], -v[146:147]
	s_clause 0x1
	buffer_load_dword v150, off, s[48:51], 0 offset:308
	buffer_load_dword v151, off, s[48:51], 0 offset:312
	v_add_f64 v[140:141], v[140:141], v[142:143]
	v_add_f64 v[142:143], v[219:220], v[154:155]
	;; [unrolled: 1-line block ×3, first 2 shown]
	s_clause 0x1
	buffer_load_dword v28, off, s[48:51], 0 offset:388
	buffer_load_dword v29, off, s[48:51], 0 offset:392
	v_mul_f64 v[154:155], v[245:246], s[28:29]
	v_mul_f64 v[22:23], v[237:238], s[10:11]
	v_add_f64 v[20:21], v[20:21], v[38:39]
	v_add_f64 v[146:147], v[146:147], v[34:35]
	v_add_f64 v[130:131], v[140:141], v[10:11]
	v_add_f64 v[40:41], v[243:244], v[142:143]
	v_add_f64 v[142:143], v[207:208], v[152:153]
	v_mul_f64 v[152:153], v[251:252], s[36:37]
	v_add_f64 v[128:129], v[134:135], v[136:137]
	v_add_f64 v[22:23], v[30:31], -v[22:23]
	v_add_f64 v[0:1], v[0:1], v[40:41]
	v_add_f64 v[40:41], v[162:163], v[132:133]
	v_fma_f64 v[132:133], v[233:234], s[26:27], -v[118:119]
	v_add_f64 v[2:3], v[2:3], v[142:143]
	v_add_f64 v[12:13], v[22:23], v[12:13]
	v_fma_f64 v[22:23], v[245:246], s[18:19], -v[152:153]
	v_mul_f64 v[142:143], v[245:246], s[26:27]
	v_fma_f64 v[118:119], v[233:234], s[26:27], v[118:119]
	v_fma_f64 v[152:153], v[245:246], s[18:19], v[152:153]
	v_add_f64 v[10:11], v[166:167], v[40:41]
	v_add_f64 v[0:1], v[132:133], v[0:1]
	;; [unrolled: 1-line block ×5, first 2 shown]
	s_waitcnt vmcnt(2)
	v_add_f64 v[144:145], v[144:145], v[150:151]
	v_mul_f64 v[150:151], v[223:224], s[24:25]
	s_waitcnt vmcnt(0)
	v_add_f64 v[148:149], v[28:29], -v[148:149]
	s_clause 0x1
	buffer_load_dword v28, off, s[48:51], 0 offset:364
	buffer_load_dword v29, off, s[48:51], 0 offset:368
	v_add_f64 v[4:5], v[144:145], v[4:5]
	v_add_f64 v[34:35], v[148:149], v[18:19]
	s_waitcnt vmcnt(0)
	v_add_f64 v[138:139], v[138:139], v[28:29]
	s_clause 0x1
	buffer_load_dword v28, off, s[48:51], 0 offset:324
	buffer_load_dword v29, off, s[48:51], 0 offset:328
	s_waitcnt vmcnt(0)
	v_add_f64 v[150:151], v[28:29], -v[150:151]
	s_clause 0x1
	buffer_load_dword v28, off, s[48:51], 0 offset:316
	buffer_load_dword v29, off, s[48:51], 0 offset:320
	v_add_f64 v[38:39], v[150:151], v[12:13]
	v_add_f64 v[12:13], v[142:143], v[16:17]
	s_waitcnt vmcnt(0)
	v_add_f64 v[154:155], v[154:155], v[28:29]
	s_clause 0x1
	buffer_load_dword v28, off, s[48:51], 0 offset:300
	buffer_load_dword v29, off, s[48:51], 0 offset:304
	v_add_f64 v[36:37], v[154:155], v[130:131]
	s_waitcnt vmcnt(0)
	v_add_f64 v[156:157], v[28:29], -v[156:157]
	s_clause 0x1
	buffer_load_dword v28, off, s[48:51], 0 offset:292
	buffer_load_dword v29, off, s[48:51], 0 offset:296
	v_add_f64 v[42:43], v[156:157], v[146:147]
	s_waitcnt vmcnt(0)
	v_add_f64 v[158:159], v[158:159], v[28:29]
	s_clause 0x1
	buffer_load_dword v28, off, s[48:51], 0 offset:276
	buffer_load_dword v29, off, s[48:51], 0 offset:280
	v_add_f64 v[40:41], v[158:159], v[4:5]
	v_add_f64 v[4:5], v[22:23], v[0:1]
	v_mov_b32_e32 v0, 4
	s_waitcnt vmcnt(0)
	v_add_f64 v[160:161], v[28:29], -v[160:161]
	s_clause 0x2
	buffer_load_dword v28, off, s[48:51], 0 offset:260
	buffer_load_dword v29, off, s[48:51], 0 offset:264
	;; [unrolled: 1-line block ×3, first 2 shown]
	v_add_f64 v[118:119], v[160:161], v[116:117]
	s_waitcnt vmcnt(1)
	v_add_f64 v[32:33], v[32:33], v[28:29]
	s_waitcnt vmcnt(0)
	v_lshlrev_b32_sdwa v0, v0, v1 dst_sel:DWORD dst_unused:UNUSED_PAD src0_sel:DWORD src1_sel:WORD_0
	v_add_f64 v[116:117], v[32:33], v[128:129]
	v_add_f64 v[32:33], v[138:139], v[20:21]
	ds_write_b128 v0, v[120:123]
	ds_write_b128 v0, v[116:119] offset:16
	ds_write_b128 v0, v[40:43] offset:32
	;; [unrolled: 1-line block ×12, first 2 shown]
.LBB0_21:
	s_or_b32 exec_lo, exec_lo, s33
	s_waitcnt lgkmcnt(0)
	s_barrier
	buffer_gl0_inv
	ds_read_b128 v[124:127], v255
	ds_read_b128 v[128:131], v255 offset:2912
	ds_read_b128 v[140:143], v255 offset:13104
	;; [unrolled: 1-line block ×7, first 2 shown]
	s_and_saveexec_b32 s2, s0
	s_cbranch_execz .LBB0_23
; %bb.22:
	ds_read_b128 v[184:187], v255 offset:11648
	ds_read_b128 v[188:191], v255 offset:24752
.LBB0_23:
	s_or_b32 exec_lo, exec_lo, s2
	s_clause 0x7
	buffer_load_dword v18, off, s[48:51], 0 offset:116
	buffer_load_dword v19, off, s[48:51], 0 offset:120
	;; [unrolled: 1-line block ×8, first 2 shown]
	s_waitcnt lgkmcnt(5)
	v_mul_f64 v[0:1], v[26:27], v[142:143]
	v_mul_f64 v[2:3], v[26:27], v[140:141]
	v_fma_f64 v[0:1], v[24:25], v[140:141], v[0:1]
	v_fma_f64 v[2:3], v[24:25], v[142:143], -v[2:3]
	s_waitcnt vmcnt(4) lgkmcnt(4)
	v_mul_f64 v[4:5], v[20:21], v[138:139]
	s_waitcnt vmcnt(0) lgkmcnt(1)
	v_mul_f64 v[8:9], v[32:33], v[150:151]
	v_mul_f64 v[10:11], v[32:33], v[148:149]
	s_clause 0x3
	buffer_load_dword v32, off, s[48:51], 0 offset:68
	buffer_load_dword v33, off, s[48:51], 0 offset:72
	;; [unrolled: 1-line block ×4, first 2 shown]
	v_mul_f64 v[6:7], v[20:21], v[136:137]
	v_fma_f64 v[16:17], v[18:19], v[136:137], v[4:5]
	v_fma_f64 v[20:21], v[30:31], v[148:149], v[8:9]
	v_fma_f64 v[22:23], v[30:31], v[150:151], -v[10:11]
	v_add_f64 v[4:5], v[124:125], -v[0:1]
	v_fma_f64 v[18:19], v[18:19], v[138:139], -v[6:7]
	v_add_f64 v[6:7], v[126:127], -v[2:3]
	v_add_f64 v[8:9], v[128:129], -v[16:17]
	;; [unrolled: 1-line block ×3, first 2 shown]
	s_waitcnt vmcnt(0) lgkmcnt(0)
	v_mul_f64 v[12:13], v[34:35], v[146:147]
	v_mul_f64 v[14:15], v[34:35], v[144:145]
	v_fma_f64 v[24:25], v[32:33], v[144:145], v[12:13]
	v_fma_f64 v[26:27], v[32:33], v[146:147], -v[14:15]
	s_clause 0x3
	buffer_load_dword v32, off, s[48:51], 0 offset:36
	buffer_load_dword v33, off, s[48:51], 0 offset:40
	;; [unrolled: 1-line block ×4, first 2 shown]
	s_waitcnt vmcnt(0)
	s_barrier
	buffer_gl0_inv
	buffer_load_dword v36, off, s[48:51], 0 offset:100 ; 4-byte Folded Reload
	v_add_f64 v[12:13], v[132:133], -v[20:21]
	v_add_f64 v[14:15], v[134:135], -v[22:23]
	v_fma_f64 v[20:21], v[124:125], 2.0, -v[4:5]
	v_fma_f64 v[22:23], v[126:127], 2.0, -v[6:7]
	s_waitcnt vmcnt(0)
	ds_write_b128 v36, v[4:7] offset:208
	ds_write_b128 v36, v[20:23]
	buffer_load_dword v4, off, s[48:51], 0 offset:96 ; 4-byte Folded Reload
	v_add_f64 v[16:17], v[120:121], -v[24:25]
	v_add_f64 v[18:19], v[122:123], -v[26:27]
	v_fma_f64 v[24:25], v[128:129], 2.0, -v[8:9]
	v_fma_f64 v[26:27], v[130:131], 2.0, -v[10:11]
	v_mul_f64 v[28:29], v[34:35], v[190:191]
	v_mul_f64 v[30:31], v[34:35], v[188:189]
	s_waitcnt vmcnt(0)
	ds_write_b128 v4, v[24:27]
	ds_write_b128 v4, v[8:11] offset:208
	buffer_load_dword v4, off, s[48:51], 0 offset:92 ; 4-byte Folded Reload
	v_fma_f64 v[0:1], v[32:33], v[188:189], v[28:29]
	v_fma_f64 v[2:3], v[32:33], v[190:191], -v[30:31]
	v_fma_f64 v[28:29], v[132:133], 2.0, -v[12:13]
	v_fma_f64 v[30:31], v[134:135], 2.0, -v[14:15]
	;; [unrolled: 1-line block ×4, first 2 shown]
	s_waitcnt vmcnt(0)
	ds_write_b128 v4, v[28:31]
	ds_write_b128 v4, v[12:15] offset:208
	buffer_load_dword v4, off, s[48:51], 0 offset:88 ; 4-byte Folded Reload
	v_add_f64 v[0:1], v[184:185], -v[0:1]
	v_add_f64 v[2:3], v[186:187], -v[2:3]
	s_waitcnt vmcnt(0)
	ds_write_b128 v4, v[32:35]
	ds_write_b128 v4, v[16:19] offset:208
	s_and_saveexec_b32 s2, s0
	s_cbranch_execz .LBB0_25
; %bb.24:
	buffer_load_dword v9, off, s[48:51], 0 offset:84 ; 4-byte Folded Reload
	v_fma_f64 v[6:7], v[186:187], 2.0, -v[2:3]
	v_fma_f64 v[4:5], v[184:185], 2.0, -v[0:1]
	v_mov_b32_e32 v8, 4
	s_waitcnt vmcnt(0)
	v_lshlrev_b32_sdwa v8, v8, v9 dst_sel:DWORD dst_unused:UNUSED_PAD src0_sel:DWORD src1_sel:WORD_0
	ds_write_b128 v8, v[4:7]
	ds_write_b128 v8, v[0:3] offset:208
.LBB0_25:
	s_or_b32 exec_lo, exec_lo, s2
	s_waitcnt lgkmcnt(0)
	s_barrier
	buffer_gl0_inv
	ds_read_b128 v[4:7], v255 offset:8736
	ds_read_b128 v[8:11], v255 offset:17472
	;; [unrolled: 1-line block ×7, first 2 shown]
	s_clause 0x7
	buffer_load_dword v48, off, s[48:51], 0 offset:148
	buffer_load_dword v49, off, s[48:51], 0 offset:152
	;; [unrolled: 1-line block ×8, first 2 shown]
	s_mov_b32 s2, 0xe8584caa
	s_mov_b32 s3, 0xbfebb67a
	;; [unrolled: 1-line block ×4, first 2 shown]
	s_waitcnt lgkmcnt(6)
	v_mul_f64 v[32:33], v[58:59], v[6:7]
	s_waitcnt lgkmcnt(5)
	v_mul_f64 v[34:35], v[54:55], v[10:11]
	v_mul_f64 v[36:37], v[58:59], v[4:5]
	;; [unrolled: 1-line block ×3, first 2 shown]
	s_waitcnt lgkmcnt(2)
	v_mul_f64 v[54:55], v[66:67], v[22:23]
	s_waitcnt lgkmcnt(1)
	v_mul_f64 v[58:59], v[62:63], v[26:27]
	v_mul_f64 v[66:67], v[66:67], v[20:21]
	;; [unrolled: 1-line block ×3, first 2 shown]
	v_fma_f64 v[32:33], v[56:57], v[4:5], v[32:33]
	v_fma_f64 v[34:35], v[52:53], v[8:9], v[34:35]
	v_fma_f64 v[36:37], v[56:57], v[6:7], -v[36:37]
	v_fma_f64 v[38:39], v[52:53], v[10:11], -v[38:39]
	v_fma_f64 v[20:21], v[64:65], v[20:21], v[54:55]
	v_fma_f64 v[24:25], v[60:61], v[24:25], v[58:59]
	ds_read_b128 v[4:7], v255
	ds_read_b128 v[8:11], v255 offset:2912
	v_fma_f64 v[26:27], v[60:61], v[26:27], -v[62:63]
	v_fma_f64 v[22:23], v[64:65], v[22:23], -v[66:67]
	s_waitcnt vmcnt(0) lgkmcnt(0)
	s_barrier
	buffer_gl0_inv
	v_add_f64 v[52:53], v[4:5], v[32:33]
	v_add_f64 v[54:55], v[36:37], -v[38:39]
	v_add_f64 v[60:61], v[28:29], v[20:21]
	v_add_f64 v[116:117], v[20:21], -v[24:25]
	v_add_f64 v[62:63], v[30:31], v[22:23]
	v_mul_f64 v[40:41], v[50:51], v[14:15]
	v_mul_f64 v[42:43], v[46:47], v[18:19]
	;; [unrolled: 1-line block ×4, first 2 shown]
	v_fma_f64 v[12:13], v[48:49], v[12:13], v[40:41]
	v_add_f64 v[40:41], v[32:33], v[34:35]
	v_fma_f64 v[16:17], v[44:45], v[16:17], v[42:43]
	v_fma_f64 v[14:15], v[48:49], v[14:15], -v[50:51]
	v_add_f64 v[48:49], v[20:21], v[24:25]
	v_fma_f64 v[18:19], v[44:45], v[18:19], -v[46:47]
	v_add_f64 v[42:43], v[36:37], v[38:39]
	v_add_f64 v[36:37], v[6:7], v[36:37]
	v_add_f64 v[32:33], v[32:33], -v[34:35]
	v_add_f64 v[50:51], v[22:23], v[26:27]
	v_add_f64 v[22:23], v[22:23], -v[26:27]
	v_add_f64 v[56:57], v[8:9], v[12:13]
	v_fma_f64 v[40:41], v[40:41], -0.5, v[4:5]
	v_add_f64 v[44:45], v[12:13], v[16:17]
	v_add_f64 v[66:67], v[12:13], -v[16:17]
	v_fma_f64 v[48:49], v[48:49], -0.5, v[28:29]
	v_add_f64 v[12:13], v[60:61], v[24:25]
	v_fma_f64 v[42:43], v[42:43], -0.5, v[6:7]
	v_add_f64 v[4:5], v[52:53], v[34:35]
	v_add_f64 v[6:7], v[36:37], v[38:39]
	;; [unrolled: 1-line block ×4, first 2 shown]
	v_add_f64 v[64:65], v[14:15], -v[18:19]
	v_add_f64 v[14:15], v[62:63], v[26:27]
	v_fma_f64 v[50:51], v[50:51], -0.5, v[30:31]
	v_fma_f64 v[24:25], v[54:55], s[2:3], v[40:41]
	v_fma_f64 v[28:29], v[54:55], s[8:9], v[40:41]
	buffer_load_dword v40, off, s[48:51], 0 offset:112 ; 4-byte Folded Reload
	v_fma_f64 v[44:45], v[44:45], -0.5, v[8:9]
	v_add_f64 v[8:9], v[56:57], v[16:17]
	v_fma_f64 v[26:27], v[32:33], s[8:9], v[42:43]
	v_fma_f64 v[30:31], v[32:33], s[2:3], v[42:43]
	;; [unrolled: 1-line block ×3, first 2 shown]
	v_fma_f64 v[46:47], v[46:47], -0.5, v[10:11]
	v_add_f64 v[10:11], v[58:59], v[18:19]
	v_fma_f64 v[20:21], v[22:23], s[8:9], v[48:49]
	s_waitcnt vmcnt(0)
	ds_write_b128 v40, v[4:7]
	ds_write_b128 v40, v[24:27] offset:416
	ds_write_b128 v40, v[28:31] offset:832
	buffer_load_dword v4, off, s[48:51], 0 offset:108 ; 4-byte Folded Reload
	v_fma_f64 v[32:33], v[64:65], s[2:3], v[44:45]
	v_fma_f64 v[34:35], v[66:67], s[8:9], v[46:47]
	;; [unrolled: 1-line block ×6, first 2 shown]
	s_waitcnt vmcnt(0)
	ds_write_b128 v4, v[8:11]
	ds_write_b128 v4, v[32:35] offset:416
	ds_write_b128 v4, v[36:39] offset:832
	buffer_load_dword v4, off, s[48:51], 0 offset:104 ; 4-byte Folded Reload
	s_waitcnt vmcnt(0)
	ds_write_b128 v4, v[12:15]
	ds_write_b128 v4, v[16:19] offset:416
	ds_write_b128 v4, v[20:23] offset:832
	s_waitcnt lgkmcnt(0)
	s_barrier
	buffer_gl0_inv
	ds_read_b128 v[24:27], v255
	ds_read_b128 v[56:59], v255 offset:3744
	ds_read_b128 v[52:55], v255 offset:7488
	;; [unrolled: 1-line block ×6, first 2 shown]
	s_and_saveexec_b32 s0, s1
	s_cbranch_execz .LBB0_27
; %bb.26:
	ds_read_b128 v[16:19], v255 offset:2912
	ds_read_b128 v[20:23], v255 offset:6656
	;; [unrolled: 1-line block ×7, first 2 shown]
	s_waitcnt lgkmcnt(0)
	buffer_store_dword v4, off, s[48:51], 0 offset:12 ; 4-byte Folded Spill
	buffer_store_dword v5, off, s[48:51], 0 offset:16 ; 4-byte Folded Spill
	;; [unrolled: 1-line block ×4, first 2 shown]
.LBB0_27:
	s_or_b32 exec_lo, exec_lo, s0
	s_waitcnt lgkmcnt(5)
	v_mul_f64 v[4:5], v[90:91], v[58:59]
	v_mul_f64 v[6:7], v[90:91], v[56:57]
	s_waitcnt lgkmcnt(4)
	v_mul_f64 v[8:9], v[78:79], v[54:55]
	v_mul_f64 v[10:11], v[78:79], v[52:53]
	;; [unrolled: 3-line block ×3, first 2 shown]
	v_mul_f64 v[32:33], v[86:87], v[50:51]
	v_mul_f64 v[34:35], v[86:87], v[48:49]
	;; [unrolled: 1-line block ×6, first 2 shown]
	s_mov_b32 s10, 0x37e14327
	s_mov_b32 s18, 0xe976ee23
	s_mov_b32 s11, 0x3fe948f6
	s_mov_b32 s19, 0x3fe11646
	s_mov_b32 s2, 0x429ad128
	s_mov_b32 s8, 0x36b3c0b5
	s_mov_b32 s3, 0xbfebfeb5
	s_mov_b32 s9, 0x3fac98ee
	s_mov_b32 s16, 0xaaaaaaaa
	s_mov_b32 s24, 0xb247c609
	v_fma_f64 v[4:5], v[88:89], v[56:57], v[4:5]
	v_fma_f64 v[6:7], v[88:89], v[58:59], -v[6:7]
	v_fma_f64 v[8:9], v[76:77], v[52:53], v[8:9]
	v_fma_f64 v[10:11], v[76:77], v[54:55], -v[10:11]
	;; [unrolled: 2-line block ×6, first 2 shown]
	s_mov_b32 s17, 0xbff2aaaa
	s_mov_b32 s20, 0x5476071b
	;; [unrolled: 1-line block ×10, first 2 shown]
	s_waitcnt_vscnt null, 0x0
	s_barrier
	buffer_gl0_inv
	v_add_f64 v[40:41], v[4:5], v[12:13]
	v_add_f64 v[42:43], v[6:7], v[14:15]
	;; [unrolled: 1-line block ×4, first 2 shown]
	v_add_f64 v[8:9], v[8:9], -v[32:33]
	v_add_f64 v[10:11], v[10:11], -v[34:35]
	v_add_f64 v[32:33], v[36:37], v[28:29]
	v_add_f64 v[34:35], v[38:39], v[30:31]
	v_add_f64 v[28:29], v[28:29], -v[36:37]
	v_add_f64 v[30:31], v[30:31], -v[38:39]
	;; [unrolled: 1-line block ×4, first 2 shown]
	v_add_f64 v[4:5], v[44:45], v[40:41]
	v_add_f64 v[6:7], v[46:47], v[42:43]
	v_add_f64 v[36:37], v[40:41], -v[32:33]
	v_add_f64 v[38:39], v[42:43], -v[34:35]
	;; [unrolled: 1-line block ×6, first 2 shown]
	v_add_f64 v[8:9], v[28:29], v[8:9]
	v_add_f64 v[10:11], v[30:31], v[10:11]
	v_add_f64 v[28:29], v[12:13], -v[28:29]
	v_add_f64 v[30:31], v[14:15], -v[30:31]
	v_add_f64 v[56:57], v[32:33], v[4:5]
	v_add_f64 v[58:59], v[34:35], v[6:7]
	v_add_f64 v[32:33], v[32:33], -v[44:45]
	v_add_f64 v[34:35], v[34:35], -v[46:47]
	v_mul_f64 v[36:37], v[36:37], s[10:11]
	v_mul_f64 v[38:39], v[38:39], s[10:11]
	;; [unrolled: 1-line block ×6, first 2 shown]
	v_add_f64 v[8:9], v[8:9], v[12:13]
	v_add_f64 v[10:11], v[10:11], v[14:15]
	;; [unrolled: 1-line block ×4, first 2 shown]
	v_add_f64 v[24:25], v[44:45], -v[40:41]
	v_add_f64 v[26:27], v[46:47], -v[42:43]
	v_mul_f64 v[40:41], v[32:33], s[8:9]
	v_mul_f64 v[42:43], v[34:35], s[8:9]
	v_fma_f64 v[12:13], v[32:33], s[8:9], v[36:37]
	v_fma_f64 v[14:15], v[34:35], s[8:9], v[38:39]
	;; [unrolled: 1-line block ×4, first 2 shown]
	v_fma_f64 v[44:45], v[52:53], s[2:3], -v[48:49]
	v_fma_f64 v[46:47], v[54:55], s[2:3], -v[50:51]
	;; [unrolled: 1-line block ×4, first 2 shown]
	v_fma_f64 v[48:49], v[56:57], s[16:17], v[4:5]
	v_fma_f64 v[50:51], v[58:59], s[16:17], v[6:7]
	v_fma_f64 v[36:37], v[24:25], s[22:23], -v[36:37]
	v_fma_f64 v[38:39], v[26:27], s[22:23], -v[38:39]
	;; [unrolled: 1-line block ×4, first 2 shown]
	v_fma_f64 v[40:41], v[8:9], s[28:29], v[32:33]
	v_fma_f64 v[42:43], v[10:11], s[28:29], v[34:35]
	;; [unrolled: 1-line block ×6, first 2 shown]
	v_add_f64 v[52:53], v[12:13], v[48:49]
	v_add_f64 v[54:55], v[14:15], v[50:51]
	;; [unrolled: 1-line block ×7, first 2 shown]
	v_add_f64 v[10:11], v[54:55], -v[40:41]
	v_add_f64 v[12:13], v[46:47], v[36:37]
	v_add_f64 v[14:15], v[38:39], -v[44:45]
	v_add_f64 v[24:25], v[28:29], -v[34:35]
	v_add_f64 v[26:27], v[32:33], v[30:31]
	v_add_f64 v[28:29], v[34:35], v[28:29]
	v_add_f64 v[30:31], v[30:31], -v[32:33]
	v_add_f64 v[32:33], v[36:37], -v[46:47]
	v_add_f64 v[34:35], v[44:45], v[38:39]
	v_add_f64 v[36:37], v[52:53], -v[42:43]
	v_add_f64 v[38:39], v[40:41], v[54:55]
	ds_write_b128 v192, v[4:7]
	ds_write_b128 v192, v[8:11] offset:1248
	ds_write_b128 v192, v[12:15] offset:2496
	ds_write_b128 v192, v[24:27] offset:3744
	ds_write_b128 v192, v[28:31] offset:4992
	ds_write_b128 v192, v[32:35] offset:6240
	ds_write_b128 v192, v[36:39] offset:7488
	s_and_saveexec_b32 s0, s1
	s_cbranch_execz .LBB0_29
; %bb.28:
	s_clause 0x13
	buffer_load_dword v50, off, s[48:51], 0 offset:228
	buffer_load_dword v51, off, s[48:51], 0 offset:232
	;; [unrolled: 1-line block ×20, first 2 shown]
	s_waitcnt vmcnt(14)
	v_mul_f64 v[4:5], v[52:53], v[58:59]
	s_waitcnt vmcnt(8)
	v_mul_f64 v[6:7], v[46:47], v[20:21]
	v_mul_f64 v[12:13], v[46:47], v[22:23]
	s_clause 0x7
	buffer_load_dword v46, off, s[48:51], 0 offset:212
	buffer_load_dword v47, off, s[48:51], 0 offset:216
	;; [unrolled: 1-line block ×8, first 2 shown]
	s_waitcnt vmcnt(12)
	v_mul_f64 v[8:9], v[56:57], v[172:173]
	s_waitcnt vmcnt(8)
	v_mul_f64 v[10:11], v[42:43], v[0:1]
	v_mul_f64 v[14:15], v[52:53], v[60:61]
	;; [unrolled: 1-line block ×4, first 2 shown]
	v_fma_f64 v[4:5], v[50:51], v[60:61], -v[4:5]
	v_fma_f64 v[6:7], v[44:45], v[22:23], -v[6:7]
	;; [unrolled: 1-line block ×4, first 2 shown]
	v_fma_f64 v[10:11], v[44:45], v[20:21], v[12:13]
	v_fma_f64 v[12:13], v[50:51], v[58:59], v[14:15]
	;; [unrolled: 1-line block ×4, first 2 shown]
	s_waitcnt vmcnt(4)
	v_mul_f64 v[28:29], v[48:49], v[178:179]
	s_waitcnt vmcnt(0)
	v_mul_f64 v[30:31], v[38:39], v[182:183]
	v_mul_f64 v[32:33], v[38:39], v[180:181]
	v_mul_f64 v[34:35], v[48:49], v[176:177]
	v_fma_f64 v[20:21], v[46:47], v[176:177], v[28:29]
	v_fma_f64 v[22:23], v[36:37], v[180:181], v[30:31]
	v_fma_f64 v[24:25], v[36:37], v[182:183], -v[32:33]
	v_fma_f64 v[26:27], v[46:47], v[178:179], -v[34:35]
	v_add_f64 v[28:29], v[6:7], v[4:5]
	v_add_f64 v[30:31], v[2:3], v[8:9]
	v_add_f64 v[32:33], v[10:11], v[12:13]
	v_add_f64 v[34:35], v[0:1], v[14:15]
	v_add_f64 v[0:1], v[0:1], -v[14:15]
	v_add_f64 v[10:11], v[10:11], -v[12:13]
	;; [unrolled: 1-line block ×5, first 2 shown]
	v_add_f64 v[20:21], v[22:23], v[20:21]
	v_add_f64 v[14:15], v[24:25], v[26:27]
	v_add_f64 v[22:23], v[26:27], -v[24:25]
	v_add_f64 v[12:13], v[30:31], v[28:29]
	v_add_f64 v[6:7], v[34:35], v[32:33]
	v_add_f64 v[38:39], v[0:1], -v[10:11]
	v_add_f64 v[42:43], v[2:3], -v[4:5]
	;; [unrolled: 1-line block ×6, first 2 shown]
	v_add_f64 v[12:13], v[14:15], v[12:13]
	v_add_f64 v[14:15], v[14:15], -v[30:31]
	v_add_f64 v[6:7], v[20:21], v[6:7]
	v_add_f64 v[20:21], v[20:21], -v[34:35]
	v_add_f64 v[44:45], v[10:11], -v[36:37]
	v_add_f64 v[36:37], v[36:37], v[0:1]
	v_add_f64 v[46:47], v[22:23], v[2:3]
	v_mul_f64 v[48:49], v[38:39], s[2:3]
	v_add_f64 v[22:23], v[4:5], -v[22:23]
	v_mul_f64 v[8:9], v[8:9], s[18:19]
	v_mul_f64 v[26:27], v[26:27], s[10:11]
	;; [unrolled: 1-line block ×3, first 2 shown]
	v_add_f64 v[2:3], v[18:19], v[12:13]
	v_add_f64 v[18:19], v[30:31], -v[28:29]
	v_mul_f64 v[28:29], v[14:15], s[8:9]
	v_mul_f64 v[30:31], v[40:41], s[18:19]
	;; [unrolled: 1-line block ×3, first 2 shown]
	v_add_f64 v[0:1], v[16:17], v[6:7]
	v_add_f64 v[16:17], v[34:35], -v[32:33]
	v_mul_f64 v[32:33], v[20:21], s[8:9]
	v_add_f64 v[10:11], v[36:37], v[10:11]
	v_add_f64 v[4:5], v[46:47], v[4:5]
	v_fma_f64 v[36:37], v[44:45], s[26:27], -v[48:49]
	v_fma_f64 v[34:35], v[44:45], s[24:25], v[8:9]
	v_fma_f64 v[20:21], v[20:21], s[8:9], v[26:27]
	;; [unrolled: 1-line block ×3, first 2 shown]
	v_fma_f64 v[8:9], v[38:39], s[2:3], -v[8:9]
	v_fma_f64 v[12:13], v[12:13], s[16:17], v[2:3]
	v_fma_f64 v[24:25], v[18:19], s[22:23], -v[24:25]
	v_fma_f64 v[18:19], v[18:19], s[20:21], -v[28:29]
	v_fma_f64 v[28:29], v[22:23], s[24:25], v[30:31]
	v_fma_f64 v[22:23], v[22:23], s[26:27], -v[40:41]
	;; [unrolled: 3-line block ×3, first 2 shown]
	v_fma_f64 v[16:17], v[16:17], s[20:21], -v[32:33]
	v_fma_f64 v[32:33], v[10:11], s[28:29], v[34:35]
	v_fma_f64 v[34:35], v[10:11], s[28:29], v[36:37]
	;; [unrolled: 1-line block ×3, first 2 shown]
	v_add_f64 v[36:37], v[14:15], v[12:13]
	v_add_f64 v[24:25], v[24:25], v[12:13]
	;; [unrolled: 1-line block ×3, first 2 shown]
	v_fma_f64 v[28:29], v[4:5], s[28:29], v[28:29]
	v_fma_f64 v[38:39], v[4:5], s[28:29], v[22:23]
	;; [unrolled: 1-line block ×3, first 2 shown]
	v_add_f64 v[30:31], v[20:21], v[6:7]
	v_add_f64 v[40:41], v[26:27], v[6:7]
	;; [unrolled: 1-line block ×3, first 2 shown]
	v_add_f64 v[26:27], v[36:37], -v[32:33]
	v_add_f64 v[10:11], v[34:35], v[24:25]
	v_add_f64 v[14:15], v[12:13], -v[8:9]
	v_add_f64 v[18:19], v[8:9], v[12:13]
	v_add_f64 v[22:23], v[24:25], -v[34:35]
	v_add_f64 v[6:7], v[32:33], v[36:37]
	v_add_f64 v[24:25], v[28:29], v[30:31]
	v_add_f64 v[20:21], v[38:39], v[40:41]
	v_add_f64 v[16:17], v[42:43], -v[4:5]
	v_add_f64 v[12:13], v[4:5], v[42:43]
	v_add_f64 v[4:5], v[30:31], -v[28:29]
	buffer_load_dword v29, off, s[48:51], 0 offset:32 ; 4-byte Folded Reload
	v_add_f64 v[8:9], v[40:41], -v[38:39]
	v_mov_b32_e32 v28, 4
	s_waitcnt vmcnt(0)
	v_lshlrev_b32_sdwa v28, v28, v29 dst_sel:DWORD dst_unused:UNUSED_PAD src0_sel:DWORD src1_sel:WORD_0
	ds_write_b128 v28, v[0:3] offset:17472
	ds_write_b128 v28, v[24:27] offset:18720
	;; [unrolled: 1-line block ×7, first 2 shown]
.LBB0_29:
	s_or_b32 exec_lo, exec_lo, s0
	s_waitcnt lgkmcnt(0)
	s_barrier
	buffer_gl0_inv
	ds_read_b128 v[0:3], v255 offset:8736
	ds_read_b128 v[4:7], v255 offset:17472
	;; [unrolled: 1-line block ×7, first 2 shown]
	s_mov_b32 s0, 0xe8584caa
	s_mov_b32 s1, 0xbfebb67a
	;; [unrolled: 1-line block ×4, first 2 shown]
	s_waitcnt lgkmcnt(6)
	v_mul_f64 v[28:29], v[94:95], v[2:3]
	s_waitcnt lgkmcnt(5)
	v_mul_f64 v[30:31], v[98:99], v[6:7]
	v_mul_f64 v[32:33], v[94:95], v[0:1]
	v_mul_f64 v[34:35], v[98:99], v[4:5]
	s_waitcnt lgkmcnt(4)
	v_mul_f64 v[36:37], v[102:103], v[10:11]
	s_waitcnt lgkmcnt(3)
	v_mul_f64 v[38:39], v[106:107], v[14:15]
	v_mul_f64 v[40:41], v[102:103], v[8:9]
	v_mul_f64 v[42:43], v[106:107], v[12:13]
	;; [unrolled: 6-line block ×3, first 2 shown]
	v_fma_f64 v[28:29], v[92:93], v[0:1], v[28:29]
	v_fma_f64 v[30:31], v[96:97], v[4:5], v[30:31]
	v_fma_f64 v[32:33], v[92:93], v[2:3], -v[32:33]
	v_fma_f64 v[34:35], v[96:97], v[6:7], -v[34:35]
	v_fma_f64 v[8:9], v[100:101], v[8:9], v[36:37]
	v_fma_f64 v[12:13], v[104:105], v[12:13], v[38:39]
	v_fma_f64 v[10:11], v[100:101], v[10:11], -v[40:41]
	v_fma_f64 v[14:15], v[104:105], v[14:15], -v[42:43]
	v_fma_f64 v[16:17], v[108:109], v[16:17], v[44:45]
	v_fma_f64 v[20:21], v[112:113], v[20:21], v[46:47]
	v_fma_f64 v[18:19], v[108:109], v[18:19], -v[48:49]
	v_fma_f64 v[22:23], v[112:113], v[22:23], -v[50:51]
	ds_read_b128 v[0:3], v255
	ds_read_b128 v[4:7], v255 offset:2912
	v_add_f64 v[36:37], v[28:29], v[30:31]
	v_add_f64 v[38:39], v[32:33], v[34:35]
	v_add_f64 v[50:51], v[32:33], -v[34:35]
	v_add_f64 v[40:41], v[8:9], v[12:13]
	v_add_f64 v[62:63], v[8:9], -v[12:13]
	v_add_f64 v[42:43], v[10:11], v[14:15]
	s_waitcnt lgkmcnt(2)
	v_add_f64 v[56:57], v[24:25], v[16:17]
	v_add_f64 v[44:45], v[16:17], v[20:21]
	s_waitcnt lgkmcnt(1)
	v_add_f64 v[48:49], v[0:1], v[28:29]
	v_add_f64 v[46:47], v[18:19], v[22:23]
	v_add_f64 v[32:33], v[2:3], v[32:33]
	s_waitcnt lgkmcnt(0)
	v_add_f64 v[52:53], v[4:5], v[8:9]
	v_add_f64 v[54:55], v[6:7], v[10:11]
	;; [unrolled: 1-line block ×3, first 2 shown]
	v_add_f64 v[28:29], v[28:29], -v[30:31]
	v_add_f64 v[60:61], v[10:11], -v[14:15]
	v_add_f64 v[64:65], v[18:19], -v[22:23]
	v_add_f64 v[66:67], v[16:17], -v[20:21]
	v_fma_f64 v[36:37], v[36:37], -0.5, v[0:1]
	v_fma_f64 v[38:39], v[38:39], -0.5, v[2:3]
	;; [unrolled: 1-line block ×4, first 2 shown]
	v_add_f64 v[8:9], v[56:57], v[20:21]
	v_fma_f64 v[44:45], v[44:45], -0.5, v[24:25]
	v_add_f64 v[0:1], v[48:49], v[30:31]
	v_fma_f64 v[46:47], v[46:47], -0.5, v[26:27]
	v_add_f64 v[2:3], v[32:33], v[34:35]
	v_add_f64 v[4:5], v[52:53], v[12:13]
	v_add_f64 v[6:7], v[54:55], v[14:15]
	v_add_f64 v[10:11], v[58:59], v[22:23]
	v_fma_f64 v[12:13], v[50:51], s[0:1], v[36:37]
	v_fma_f64 v[16:17], v[50:51], s[2:3], v[36:37]
	;; [unrolled: 1-line block ×12, first 2 shown]
	ds_write_b128 v255, v[0:3]
	ds_write_b128 v255, v[4:7] offset:2912
	ds_write_b128 v255, v[8:11] offset:5824
	;; [unrolled: 1-line block ×8, first 2 shown]
	s_waitcnt lgkmcnt(0)
	s_barrier
	buffer_gl0_inv
	s_and_b32 exec_lo, exec_lo, vcc_lo
	s_cbranch_execz .LBB0_31
; %bb.30:
	v_add_co_u32 v0, s0, s14, v255
	v_add_co_ci_u32_e64 v1, null, s15, 0, s0
	s_mul_i32 s0, s5, 0x7e0
	v_add_co_u32 v10, vcc_lo, 0x800, v0
	v_add_co_ci_u32_e32 v11, vcc_lo, 0, v1, vcc_lo
	v_add_co_u32 v14, vcc_lo, 0x1000, v0
	v_add_co_ci_u32_e32 v15, vcc_lo, 0, v1, vcc_lo
	;; [unrolled: 2-line block ×10, first 2 shown]
	s_clause 0xb
	global_load_dwordx4 v[2:5], v255, s[14:15]
	global_load_dwordx4 v[6:9], v255, s[14:15] offset:2016
	global_load_dwordx4 v[10:13], v[10:11], off offset:1984
	global_load_dwordx4 v[14:17], v[14:15], off offset:1952
	;; [unrolled: 1-line block ×10, first 2 shown]
	s_clause 0x2
	buffer_load_dword v50, off, s[48:51], 0 offset:4
	buffer_load_dword v51, off, s[48:51], 0 offset:8
	buffer_load_dword v56, off, s[48:51], 0
	s_mul_hi_u32 s1, s4, 0x7e0
	s_mul_i32 s2, s4, 0x7e0
	s_add_i32 s3, s1, s0
	s_mov_b32 s0, 0x14014014
	s_mov_b32 s1, 0x3f440140
	s_waitcnt vmcnt(2)
	v_mov_b32_e32 v54, v50
	s_waitcnt vmcnt(0)
	v_mad_u64_u32 v[52:53], null, s4, v56, 0
	v_mad_u64_u32 v[50:51], null, s6, v54, 0
	;; [unrolled: 1-line block ×4, first 2 shown]
	v_mov_b32_e32 v51, v54
	v_lshlrev_b64 v[50:51], 4, v[50:51]
	v_mov_b32_e32 v53, v55
	v_lshlrev_b64 v[52:53], 4, v[52:53]
	v_add_co_u32 v50, vcc_lo, s12, v50
	v_add_co_ci_u32_e32 v51, vcc_lo, s13, v51, vcc_lo
	v_add_co_u32 v102, vcc_lo, v50, v52
	v_add_co_ci_u32_e32 v103, vcc_lo, v51, v53, vcc_lo
	ds_read_b128 v[50:53], v255
	ds_read_b128 v[54:57], v255 offset:2016
	ds_read_b128 v[58:61], v255 offset:4032
	ds_read_b128 v[62:65], v255 offset:6048
	ds_read_b128 v[66:69], v255 offset:8064
	ds_read_b128 v[70:73], v255 offset:10080
	ds_read_b128 v[74:77], v255 offset:12096
	ds_read_b128 v[78:81], v255 offset:14112
	ds_read_b128 v[82:85], v255 offset:16128
	ds_read_b128 v[86:89], v255 offset:18144
	ds_read_b128 v[90:93], v255 offset:20160
	ds_read_b128 v[94:97], v255 offset:22176
	v_add_co_u32 v104, vcc_lo, v102, s2
	v_add_co_ci_u32_e32 v105, vcc_lo, s3, v103, vcc_lo
	ds_read_b128 v[98:101], v255 offset:24192
	v_add_co_u32 v106, vcc_lo, v104, s2
	v_add_co_ci_u32_e32 v107, vcc_lo, s3, v105, vcc_lo
	v_add_co_u32 v108, vcc_lo, v106, s2
	v_add_co_ci_u32_e32 v109, vcc_lo, s3, v107, vcc_lo
	s_waitcnt lgkmcnt(12)
	v_mul_f64 v[122:123], v[52:53], v[4:5]
	v_mul_f64 v[4:5], v[50:51], v[4:5]
	s_waitcnt lgkmcnt(11)
	v_mul_f64 v[124:125], v[56:57], v[8:9]
	v_mul_f64 v[8:9], v[54:55], v[8:9]
	;; [unrolled: 3-line block ×12, first 2 shown]
	v_fma_f64 v[50:51], v[50:51], v[2:3], v[122:123]
	v_fma_f64 v[4:5], v[2:3], v[52:53], -v[4:5]
	v_fma_f64 v[52:53], v[54:55], v[6:7], v[124:125]
	v_fma_f64 v[8:9], v[6:7], v[56:57], -v[8:9]
	;; [unrolled: 2-line block ×5, first 2 shown]
	v_add_co_u32 v110, vcc_lo, v108, s2
	v_fma_f64 v[60:61], v[70:71], v[22:23], v[132:133]
	v_fma_f64 v[24:25], v[22:23], v[72:73], -v[24:25]
	v_fma_f64 v[62:63], v[74:75], v[26:27], v[134:135]
	v_fma_f64 v[28:29], v[26:27], v[76:77], -v[28:29]
	v_add_co_ci_u32_e32 v111, vcc_lo, s3, v109, vcc_lo
	v_fma_f64 v[64:65], v[78:79], v[30:31], v[136:137]
	v_fma_f64 v[32:33], v[30:31], v[80:81], -v[32:33]
	v_fma_f64 v[66:67], v[82:83], v[34:35], v[138:139]
	v_fma_f64 v[36:37], v[34:35], v[84:85], -v[36:37]
	;; [unrolled: 2-line block ×3, first 2 shown]
	v_add_co_u32 v112, vcc_lo, v110, s2
	v_fma_f64 v[70:71], v[90:91], v[42:43], v[142:143]
	v_fma_f64 v[44:45], v[42:43], v[92:93], -v[44:45]
	v_fma_f64 v[72:73], v[94:95], v[46:47], v[144:145]
	v_fma_f64 v[48:49], v[46:47], v[96:97], -v[48:49]
	v_add_co_ci_u32_e32 v113, vcc_lo, s3, v111, vcc_lo
	v_add_co_u32 v114, vcc_lo, v112, s2
	v_mul_f64 v[2:3], v[50:51], s[0:1]
	v_add_co_ci_u32_e32 v115, vcc_lo, s3, v113, vcc_lo
	v_add_co_u32 v116, vcc_lo, v114, s2
	v_mul_f64 v[4:5], v[4:5], s[0:1]
	v_add_co_ci_u32_e32 v117, vcc_lo, s3, v115, vcc_lo
	v_mul_f64 v[6:7], v[52:53], s[0:1]
	v_mul_f64 v[8:9], v[8:9], s[0:1]
	;; [unrolled: 1-line block ×4, first 2 shown]
	v_add_co_u32 v118, vcc_lo, v116, s2
	v_mul_f64 v[14:15], v[56:57], s[0:1]
	v_mul_f64 v[16:17], v[16:17], s[0:1]
	;; [unrolled: 1-line block ×4, first 2 shown]
	v_add_co_ci_u32_e32 v119, vcc_lo, s3, v117, vcc_lo
	v_mul_f64 v[22:23], v[60:61], s[0:1]
	v_mul_f64 v[24:25], v[24:25], s[0:1]
	;; [unrolled: 1-line block ×6, first 2 shown]
	v_add_co_u32 v120, vcc_lo, v118, s2
	v_mul_f64 v[34:35], v[66:67], s[0:1]
	v_mul_f64 v[36:37], v[36:37], s[0:1]
	;; [unrolled: 1-line block ×4, first 2 shown]
	v_add_co_ci_u32_e32 v121, vcc_lo, s3, v119, vcc_lo
	v_mul_f64 v[42:43], v[70:71], s[0:1]
	v_mul_f64 v[44:45], v[44:45], s[0:1]
	;; [unrolled: 1-line block ×4, first 2 shown]
	v_add_co_u32 v50, vcc_lo, v120, s2
	v_add_co_ci_u32_e32 v51, vcc_lo, s3, v121, vcc_lo
	v_add_co_u32 v0, vcc_lo, 0x5800, v0
	v_add_co_ci_u32_e32 v1, vcc_lo, 0, v1, vcc_lo
	;; [unrolled: 2-line block ×3, first 2 shown]
	global_store_dwordx4 v[102:103], v[2:5], off
	global_store_dwordx4 v[104:105], v[6:9], off
	;; [unrolled: 1-line block ×12, first 2 shown]
	global_load_dwordx4 v[0:3], v[0:1], off offset:1664
	s_waitcnt vmcnt(0) lgkmcnt(0)
	v_mul_f64 v[4:5], v[100:101], v[2:3]
	v_mul_f64 v[2:3], v[98:99], v[2:3]
	v_fma_f64 v[4:5], v[98:99], v[0:1], v[4:5]
	v_fma_f64 v[2:3], v[0:1], v[100:101], -v[2:3]
	v_mul_f64 v[0:1], v[4:5], s[0:1]
	v_mul_f64 v[2:3], v[2:3], s[0:1]
	v_add_co_u32 v4, vcc_lo, v52, s2
	v_add_co_ci_u32_e32 v5, vcc_lo, s3, v53, vcc_lo
	global_store_dwordx4 v[4:5], v[0:3], off
.LBB0_31:
	s_endpgm
	.section	.rodata,"a",@progbits
	.p2align	6, 0x0
	.amdhsa_kernel bluestein_single_fwd_len1638_dim1_dp_op_CI_CI
		.amdhsa_group_segment_fixed_size 26208
		.amdhsa_private_segment_fixed_size 488
		.amdhsa_kernarg_size 104
		.amdhsa_user_sgpr_count 6
		.amdhsa_user_sgpr_private_segment_buffer 1
		.amdhsa_user_sgpr_dispatch_ptr 0
		.amdhsa_user_sgpr_queue_ptr 0
		.amdhsa_user_sgpr_kernarg_segment_ptr 1
		.amdhsa_user_sgpr_dispatch_id 0
		.amdhsa_user_sgpr_flat_scratch_init 0
		.amdhsa_user_sgpr_private_segment_size 0
		.amdhsa_wavefront_size32 1
		.amdhsa_uses_dynamic_stack 0
		.amdhsa_system_sgpr_private_segment_wavefront_offset 1
		.amdhsa_system_sgpr_workgroup_id_x 1
		.amdhsa_system_sgpr_workgroup_id_y 0
		.amdhsa_system_sgpr_workgroup_id_z 0
		.amdhsa_system_sgpr_workgroup_info 0
		.amdhsa_system_vgpr_workitem_id 0
		.amdhsa_next_free_vgpr 256
		.amdhsa_next_free_sgpr 52
		.amdhsa_reserve_vcc 1
		.amdhsa_reserve_flat_scratch 0
		.amdhsa_float_round_mode_32 0
		.amdhsa_float_round_mode_16_64 0
		.amdhsa_float_denorm_mode_32 3
		.amdhsa_float_denorm_mode_16_64 3
		.amdhsa_dx10_clamp 1
		.amdhsa_ieee_mode 1
		.amdhsa_fp16_overflow 0
		.amdhsa_workgroup_processor_mode 1
		.amdhsa_memory_ordered 1
		.amdhsa_forward_progress 0
		.amdhsa_shared_vgpr_count 0
		.amdhsa_exception_fp_ieee_invalid_op 0
		.amdhsa_exception_fp_denorm_src 0
		.amdhsa_exception_fp_ieee_div_zero 0
		.amdhsa_exception_fp_ieee_overflow 0
		.amdhsa_exception_fp_ieee_underflow 0
		.amdhsa_exception_fp_ieee_inexact 0
		.amdhsa_exception_int_div_zero 0
	.end_amdhsa_kernel
	.text
.Lfunc_end0:
	.size	bluestein_single_fwd_len1638_dim1_dp_op_CI_CI, .Lfunc_end0-bluestein_single_fwd_len1638_dim1_dp_op_CI_CI
                                        ; -- End function
	.section	.AMDGPU.csdata,"",@progbits
; Kernel info:
; codeLenInByte = 24856
; NumSgprs: 54
; NumVgprs: 256
; ScratchSize: 488
; MemoryBound: 0
; FloatMode: 240
; IeeeMode: 1
; LDSByteSize: 26208 bytes/workgroup (compile time only)
; SGPRBlocks: 6
; VGPRBlocks: 31
; NumSGPRsForWavesPerEU: 54
; NumVGPRsForWavesPerEU: 256
; Occupancy: 4
; WaveLimiterHint : 1
; COMPUTE_PGM_RSRC2:SCRATCH_EN: 1
; COMPUTE_PGM_RSRC2:USER_SGPR: 6
; COMPUTE_PGM_RSRC2:TRAP_HANDLER: 0
; COMPUTE_PGM_RSRC2:TGID_X_EN: 1
; COMPUTE_PGM_RSRC2:TGID_Y_EN: 0
; COMPUTE_PGM_RSRC2:TGID_Z_EN: 0
; COMPUTE_PGM_RSRC2:TIDIG_COMP_CNT: 0
	.text
	.p2alignl 6, 3214868480
	.fill 48, 4, 3214868480
	.type	__hip_cuid_2cc7dc266679f439,@object ; @__hip_cuid_2cc7dc266679f439
	.section	.bss,"aw",@nobits
	.globl	__hip_cuid_2cc7dc266679f439
__hip_cuid_2cc7dc266679f439:
	.byte	0                               ; 0x0
	.size	__hip_cuid_2cc7dc266679f439, 1

	.ident	"AMD clang version 19.0.0git (https://github.com/RadeonOpenCompute/llvm-project roc-6.4.0 25133 c7fe45cf4b819c5991fe208aaa96edf142730f1d)"
	.section	".note.GNU-stack","",@progbits
	.addrsig
	.addrsig_sym __hip_cuid_2cc7dc266679f439
	.amdgpu_metadata
---
amdhsa.kernels:
  - .args:
      - .actual_access:  read_only
        .address_space:  global
        .offset:         0
        .size:           8
        .value_kind:     global_buffer
      - .actual_access:  read_only
        .address_space:  global
        .offset:         8
        .size:           8
        .value_kind:     global_buffer
      - .actual_access:  read_only
        .address_space:  global
        .offset:         16
        .size:           8
        .value_kind:     global_buffer
      - .actual_access:  read_only
        .address_space:  global
        .offset:         24
        .size:           8
        .value_kind:     global_buffer
      - .actual_access:  read_only
        .address_space:  global
        .offset:         32
        .size:           8
        .value_kind:     global_buffer
      - .offset:         40
        .size:           8
        .value_kind:     by_value
      - .address_space:  global
        .offset:         48
        .size:           8
        .value_kind:     global_buffer
      - .address_space:  global
        .offset:         56
        .size:           8
        .value_kind:     global_buffer
      - .address_space:  global
        .offset:         64
        .size:           8
        .value_kind:     global_buffer
      - .address_space:  global
        .offset:         72
        .size:           8
        .value_kind:     global_buffer
      - .offset:         80
        .size:           4
        .value_kind:     by_value
      - .address_space:  global
        .offset:         88
        .size:           8
        .value_kind:     global_buffer
      - .address_space:  global
        .offset:         96
        .size:           8
        .value_kind:     global_buffer
    .group_segment_fixed_size: 26208
    .kernarg_segment_align: 8
    .kernarg_segment_size: 104
    .language:       OpenCL C
    .language_version:
      - 2
      - 0
    .max_flat_workgroup_size: 182
    .name:           bluestein_single_fwd_len1638_dim1_dp_op_CI_CI
    .private_segment_fixed_size: 488
    .sgpr_count:     54
    .sgpr_spill_count: 0
    .symbol:         bluestein_single_fwd_len1638_dim1_dp_op_CI_CI.kd
    .uniform_work_group_size: 1
    .uses_dynamic_stack: false
    .vgpr_count:     256
    .vgpr_spill_count: 127
    .wavefront_size: 32
    .workgroup_processor_mode: 1
amdhsa.target:   amdgcn-amd-amdhsa--gfx1030
amdhsa.version:
  - 1
  - 2
...

	.end_amdgpu_metadata
